;; amdgpu-corpus repo=ROCm/rocFFT kind=compiled arch=gfx906 opt=O3
	.text
	.amdgcn_target "amdgcn-amd-amdhsa--gfx906"
	.amdhsa_code_object_version 6
	.protected	bluestein_single_back_len1716_dim1_dp_op_CI_CI ; -- Begin function bluestein_single_back_len1716_dim1_dp_op_CI_CI
	.globl	bluestein_single_back_len1716_dim1_dp_op_CI_CI
	.p2align	8
	.type	bluestein_single_back_len1716_dim1_dp_op_CI_CI,@function
bluestein_single_back_len1716_dim1_dp_op_CI_CI: ; @bluestein_single_back_len1716_dim1_dp_op_CI_CI
; %bb.0:
	s_mov_b64 s[54:55], s[2:3]
	s_mov_b64 s[52:53], s[0:1]
	s_load_dwordx4 s[0:3], s[4:5], 0x28
	v_mul_u32_u24_e32 v1, 0x1a5, v0
	v_add_u32_sdwa v207, s6, v1 dst_sel:DWORD dst_unused:UNUSED_PAD src0_sel:DWORD src1_sel:WORD_1
	v_mov_b32_e32 v208, 0
	s_add_u32 s52, s52, s7
	s_waitcnt lgkmcnt(0)
	v_cmp_gt_u64_e32 vcc, s[0:1], v[207:208]
	s_addc_u32 s53, s53, 0
	s_and_saveexec_b64 s[0:1], vcc
	s_cbranch_execz .LBB0_31
; %bb.1:
	s_load_dwordx2 s[12:13], s[4:5], 0x0
	s_load_dwordx2 s[6:7], s[4:5], 0x38
	s_movk_i32 s0, 0x9c
	v_mul_lo_u16_sdwa v1, v1, s0 dst_sel:DWORD dst_unused:UNUSED_PAD src0_sel:WORD_1 src1_sel:DWORD
	v_sub_u16_e32 v208, v0, v1
	s_movk_i32 s0, 0x84
	v_cmp_gt_u16_e64 s[0:1], s0, v208
	v_lshlrev_b32_e32 v255, 4, v208
	s_and_saveexec_b64 s[14:15], s[0:1]
	s_cbranch_execz .LBB0_3
; %bb.2:
	s_load_dwordx2 s[8:9], s[4:5], 0x18
	s_waitcnt lgkmcnt(0)
	s_load_dwordx4 s[8:11], s[8:9], 0x0
	s_waitcnt lgkmcnt(0)
	v_mad_u64_u32 v[0:1], s[16:17], s10, v207, 0
	v_mad_u64_u32 v[2:3], s[16:17], s8, v208, 0
	;; [unrolled: 1-line block ×4, first 2 shown]
	v_mov_b32_e32 v1, v4
	v_lshlrev_b64 v[0:1], 4, v[0:1]
	v_mov_b32_e32 v3, v5
	v_mov_b32_e32 v6, s3
	v_lshlrev_b64 v[2:3], 4, v[2:3]
	v_add_co_u32_e32 v0, vcc, s2, v0
	v_addc_co_u32_e32 v1, vcc, v6, v1, vcc
	v_add_co_u32_e32 v16, vcc, v0, v2
	v_addc_co_u32_e32 v17, vcc, v1, v3, vcc
	v_mov_b32_e32 v0, s13
	v_add_co_u32_e32 v100, vcc, s12, v255
	s_mul_i32 s2, s9, 0x840
	s_mul_hi_u32 s3, s8, 0x840
	v_addc_co_u32_e32 v101, vcc, 0, v0, vcc
	s_add_i32 s2, s3, s2
	s_mul_i32 s3, s8, 0x840
	v_mov_b32_e32 v4, s2
	v_add_co_u32_e32 v18, vcc, s3, v16
	v_addc_co_u32_e32 v19, vcc, v17, v4, vcc
	global_load_dwordx4 v[0:3], v255, s[12:13]
	global_load_dwordx4 v[4:7], v[16:17], off
	global_load_dwordx4 v[8:11], v[18:19], off
	global_load_dwordx4 v[12:15], v255, s[12:13] offset:2112
	v_mov_b32_e32 v16, s2
	v_add_co_u32_e32 v20, vcc, s3, v18
	v_addc_co_u32_e32 v21, vcc, v19, v16, vcc
	s_movk_i32 s8, 0x1000
	v_add_co_u32_e32 v28, vcc, s8, v100
	v_addc_co_u32_e32 v29, vcc, 0, v101, vcc
	v_mov_b32_e32 v22, s2
	v_add_co_u32_e32 v36, vcc, s3, v20
	v_addc_co_u32_e32 v37, vcc, v21, v22, vcc
	global_load_dwordx4 v[16:19], v[20:21], off
	s_nop 0
	global_load_dwordx4 v[20:23], v[28:29], off offset:128
	global_load_dwordx4 v[24:27], v[28:29], off offset:2240
	v_mov_b32_e32 v28, s2
	v_add_co_u32_e32 v38, vcc, s3, v36
	v_addc_co_u32_e32 v39, vcc, v37, v28, vcc
	s_movk_i32 s8, 0x2000
	v_add_co_u32_e32 v48, vcc, s8, v100
	v_addc_co_u32_e32 v49, vcc, 0, v101, vcc
	global_load_dwordx4 v[28:31], v[36:37], off
	global_load_dwordx4 v[32:35], v[38:39], off
	v_mov_b32_e32 v36, s2
	v_add_co_u32_e32 v50, vcc, s3, v38
	v_addc_co_u32_e32 v51, vcc, v39, v36, vcc
	global_load_dwordx4 v[36:39], v[50:51], off
	global_load_dwordx4 v[40:43], v[48:49], off offset:256
	global_load_dwordx4 v[44:47], v[48:49], off offset:2368
	v_mov_b32_e32 v48, s2
	v_add_co_u32_e32 v52, vcc, s3, v50
	v_addc_co_u32_e32 v53, vcc, v51, v48, vcc
	s_movk_i32 s8, 0x3000
	v_add_co_u32_e32 v64, vcc, s8, v100
	v_addc_co_u32_e32 v65, vcc, 0, v101, vcc
	v_mov_b32_e32 v54, s2
	v_add_co_u32_e32 v66, vcc, s3, v52
	v_addc_co_u32_e32 v67, vcc, v53, v54, vcc
	global_load_dwordx4 v[48:51], v[52:53], off
	s_nop 0
	global_load_dwordx4 v[52:55], v[66:67], off
	global_load_dwordx4 v[56:59], v[64:65], off offset:384
	global_load_dwordx4 v[60:63], v[64:65], off offset:2496
	v_mov_b32_e32 v64, s2
	v_add_co_u32_e32 v68, vcc, s3, v66
	v_addc_co_u32_e32 v69, vcc, v67, v64, vcc
	s_movk_i32 s8, 0x4000
	v_add_co_u32_e32 v80, vcc, s8, v100
	v_addc_co_u32_e32 v81, vcc, 0, v101, vcc
	v_mov_b32_e32 v70, s2
	v_add_co_u32_e32 v82, vcc, s3, v68
	v_addc_co_u32_e32 v83, vcc, v69, v70, vcc
	global_load_dwordx4 v[64:67], v[68:69], off
	s_nop 0
	;; [unrolled: 14-line block ×3, first 2 shown]
	global_load_dwordx4 v[84:87], v[98:99], off
	global_load_dwordx4 v[88:91], v[96:97], off offset:640
	global_load_dwordx4 v[92:95], v[96:97], off offset:2752
	v_mov_b32_e32 v97, s2
	v_add_co_u32_e32 v96, vcc, s3, v98
	v_addc_co_u32_e32 v97, vcc, v99, v97, vcc
	s_movk_i32 s2, 0x6000
	v_add_co_u32_e32 v100, vcc, s2, v100
	v_addc_co_u32_e32 v101, vcc, 0, v101, vcc
	global_load_dwordx4 v[96:99], v[96:97], off
	s_waitcnt vmcnt(23)
	v_mul_f64 v[104:105], v[6:7], v[2:3]
	global_load_dwordx4 v[100:103], v[100:101], off offset:768
	v_mul_f64 v[106:107], v[4:5], v[2:3]
	v_fma_f64 v[2:3], v[4:5], v[0:1], v[104:105]
	s_waitcnt vmcnt(20)
	v_mul_f64 v[104:105], v[18:19], v[22:23]
	v_fma_f64 v[4:5], v[6:7], v[0:1], -v[106:107]
	v_mul_f64 v[0:1], v[10:11], v[14:15]
	v_mul_f64 v[14:15], v[8:9], v[14:15]
	;; [unrolled: 1-line block ×3, first 2 shown]
	s_waitcnt vmcnt(18)
	v_mul_f64 v[106:107], v[30:31], v[26:27]
	v_mul_f64 v[26:27], v[28:29], v[26:27]
	s_waitcnt vmcnt(15)
	v_mul_f64 v[108:109], v[34:35], v[42:43]
	v_mul_f64 v[42:43], v[32:33], v[42:43]
	v_fma_f64 v[6:7], v[8:9], v[12:13], v[0:1]
	v_fma_f64 v[8:9], v[10:11], v[12:13], -v[14:15]
	v_fma_f64 v[10:11], v[16:17], v[20:21], v[104:105]
	v_fma_f64 v[12:13], v[18:19], v[20:21], -v[22:23]
	;; [unrolled: 2-line block ×4, first 2 shown]
	ds_write_b128 v255, v[2:5]
	ds_write_b128 v255, v[6:9] offset:2112
	ds_write_b128 v255, v[10:13] offset:4224
	;; [unrolled: 1-line block ×4, first 2 shown]
	s_waitcnt vmcnt(14)
	v_mul_f64 v[0:1], v[38:39], v[46:47]
	v_mul_f64 v[2:3], v[36:37], v[46:47]
	s_waitcnt vmcnt(11)
	v_mul_f64 v[4:5], v[50:51], v[58:59]
	v_mul_f64 v[6:7], v[48:49], v[58:59]
	s_waitcnt vmcnt(10)
	v_mul_f64 v[8:9], v[54:55], v[62:63]
	v_mul_f64 v[10:11], v[52:53], v[62:63]
	v_fma_f64 v[0:1], v[36:37], v[44:45], v[0:1]
	v_fma_f64 v[2:3], v[38:39], v[44:45], -v[2:3]
	v_fma_f64 v[4:5], v[48:49], v[56:57], v[4:5]
	v_fma_f64 v[6:7], v[50:51], v[56:57], -v[6:7]
	;; [unrolled: 2-line block ×3, first 2 shown]
	s_waitcnt vmcnt(7)
	v_mul_f64 v[12:13], v[66:67], v[74:75]
	v_mul_f64 v[14:15], v[64:65], v[74:75]
	s_waitcnt vmcnt(6)
	v_mul_f64 v[16:17], v[70:71], v[78:79]
	v_mul_f64 v[18:19], v[68:69], v[78:79]
	v_fma_f64 v[12:13], v[64:65], v[72:73], v[12:13]
	v_fma_f64 v[14:15], v[66:67], v[72:73], -v[14:15]
	v_fma_f64 v[16:17], v[68:69], v[76:77], v[16:17]
	v_fma_f64 v[18:19], v[70:71], v[76:77], -v[18:19]
	s_waitcnt vmcnt(3)
	v_mul_f64 v[20:21], v[82:83], v[90:91]
	v_mul_f64 v[22:23], v[80:81], v[90:91]
	s_waitcnt vmcnt(2)
	v_mul_f64 v[24:25], v[86:87], v[94:95]
	v_mul_f64 v[26:27], v[84:85], v[94:95]
	v_fma_f64 v[20:21], v[80:81], v[88:89], v[20:21]
	v_fma_f64 v[22:23], v[82:83], v[88:89], -v[22:23]
	v_fma_f64 v[24:25], v[84:85], v[92:93], v[24:25]
	v_fma_f64 v[26:27], v[86:87], v[92:93], -v[26:27]
	s_waitcnt vmcnt(0)
	v_mul_f64 v[28:29], v[98:99], v[102:103]
	v_mul_f64 v[30:31], v[96:97], v[102:103]
	v_fma_f64 v[28:29], v[96:97], v[100:101], v[28:29]
	v_fma_f64 v[30:31], v[98:99], v[100:101], -v[30:31]
	ds_write_b128 v255, v[0:3] offset:10560
	ds_write_b128 v255, v[4:7] offset:12672
	;; [unrolled: 1-line block ×8, first 2 shown]
.LBB0_3:
	s_or_b64 exec, exec, s[14:15]
	s_waitcnt lgkmcnt(0)
	s_barrier
	s_waitcnt lgkmcnt(0)
                                        ; implicit-def: $vgpr4_vgpr5
                                        ; implicit-def: $vgpr8_vgpr9
                                        ; implicit-def: $vgpr12_vgpr13
                                        ; implicit-def: $vgpr20_vgpr21
                                        ; implicit-def: $vgpr24_vgpr25
                                        ; implicit-def: $vgpr28_vgpr29
                                        ; implicit-def: $vgpr32_vgpr33
                                        ; implicit-def: $vgpr36_vgpr37
                                        ; implicit-def: $vgpr40_vgpr41
                                        ; implicit-def: $vgpr44_vgpr45
                                        ; implicit-def: $vgpr52_vgpr53
                                        ; implicit-def: $vgpr56_vgpr57
                                        ; implicit-def: $vgpr60_vgpr61
	s_and_saveexec_b64 s[2:3], s[0:1]
	s_cbranch_execz .LBB0_5
; %bb.4:
	ds_read_b128 v[4:7], v255
	ds_read_b128 v[8:11], v255 offset:2112
	ds_read_b128 v[12:15], v255 offset:4224
	;; [unrolled: 1-line block ×12, first 2 shown]
.LBB0_5:
	s_or_b64 exec, exec, s[2:3]
	s_waitcnt lgkmcnt(0)
	v_add_f64 v[94:95], v[10:11], -v[62:63]
	v_add_f64 v[86:87], v[8:9], -v[60:61]
	s_mov_b32 s20, 0x4267c47c
	s_mov_b32 s21, 0xbfddbe06
	v_add_f64 v[82:83], v[8:9], v[60:61]
	v_add_f64 v[102:103], v[10:11], v[62:63]
	v_add_f64 v[108:109], v[14:15], -v[58:59]
	v_add_f64 v[98:99], v[12:13], -v[56:57]
	v_mul_f64 v[64:65], v[94:95], s[20:21]
	v_mul_f64 v[66:67], v[86:87], s[20:21]
	s_mov_b32 s10, 0xe00740e9
	s_mov_b32 s16, 0x42a4c3d2
	;; [unrolled: 1-line block ×4, first 2 shown]
	v_add_f64 v[88:89], v[12:13], v[56:57]
	v_add_f64 v[122:123], v[14:15], v[58:59]
	v_fma_f64 v[0:1], v[82:83], s[10:11], v[64:65]
	v_fma_f64 v[2:3], v[102:103], s[10:11], -v[66:67]
	v_mul_f64 v[68:69], v[108:109], s[16:17]
	v_mul_f64 v[70:71], v[98:99], s[16:17]
	v_add_f64 v[124:125], v[22:23], -v[54:55]
	v_add_f64 v[112:113], v[20:21], -v[52:53]
	s_mov_b32 s2, 0x1ea71119
	s_mov_b32 s22, 0x66966769
	;; [unrolled: 1-line block ×4, first 2 shown]
	v_add_f64 v[0:1], v[4:5], v[0:1]
	v_add_f64 v[2:3], v[6:7], v[2:3]
	v_fma_f64 v[16:17], v[88:89], s[2:3], v[68:69]
	v_fma_f64 v[18:19], v[122:123], s[2:3], -v[70:71]
	v_add_f64 v[106:107], v[20:21], v[52:53]
	v_add_f64 v[132:133], v[22:23], v[54:55]
	v_mul_f64 v[72:73], v[124:125], s[22:23]
	v_mul_f64 v[74:75], v[112:113], s[22:23]
	v_add_f64 v[136:137], v[26:27], -v[46:47]
	v_add_f64 v[120:121], v[24:25], -v[44:45]
	s_mov_b32 s18, 0xebaa3ed8
	s_mov_b32 s26, 0x2ef20147
	s_mov_b32 s19, 0x3fbedb7d
	s_mov_b32 s27, 0xbfedeba7
	v_add_f64 v[0:1], v[16:17], v[0:1]
	v_add_f64 v[2:3], v[18:19], v[2:3]
	v_fma_f64 v[16:17], v[106:107], s[18:19], v[72:73]
	v_add_f64 v[110:111], v[24:25], v[44:45]
	v_mul_f64 v[76:77], v[136:137], s[26:27]
	v_fma_f64 v[18:19], v[132:133], s[18:19], -v[74:75]
	v_add_f64 v[134:135], v[26:27], v[46:47]
	v_mul_f64 v[78:79], v[120:121], s[26:27]
	v_add_f64 v[140:141], v[30:31], -v[42:43]
	v_add_f64 v[156:157], v[28:29], -v[40:41]
	s_mov_b32 s24, 0xb2365da1
	s_mov_b32 s30, 0x24c2f84
	;; [unrolled: 1-line block ×6, first 2 shown]
	v_add_f64 v[0:1], v[16:17], v[0:1]
	v_fma_f64 v[16:17], v[110:111], s[24:25], v[76:77]
	v_add_f64 v[128:129], v[28:29], v[40:41]
	v_mul_f64 v[80:81], v[140:141], s[38:39]
	v_add_f64 v[2:3], v[18:19], v[2:3]
	v_fma_f64 v[18:19], v[134:135], s[24:25], -v[78:79]
	v_add_f64 v[158:159], v[30:31], v[42:43]
	v_mul_f64 v[84:85], v[156:157], s[38:39]
	s_mov_b32 s28, 0xd0032e0c
	s_mov_b32 s29, 0xbfe7f3cc
	v_add_f64 v[0:1], v[16:17], v[0:1]
	v_fma_f64 v[16:17], v[128:129], s[28:29], v[80:81]
	v_mul_f64 v[96:97], v[94:95], s[16:17]
	v_add_f64 v[2:3], v[18:19], v[2:3]
	v_mul_f64 v[148:149], v[86:87], s[16:17]
	v_fma_f64 v[18:19], v[158:159], s[28:29], -v[84:85]
	v_mul_f64 v[100:101], v[108:109], s[26:27]
	v_mul_f64 v[116:117], v[98:99], s[26:27]
	s_mov_b32 s36, 0x4bc48dbf
	v_add_f64 v[0:1], v[16:17], v[0:1]
	v_fma_f64 v[16:17], v[82:83], s[2:3], v[96:97]
	s_mov_b32 s37, 0xbfcea1e5
	v_mul_f64 v[104:105], v[124:125], s[36:37]
	v_add_f64 v[2:3], v[18:19], v[2:3]
	v_fma_f64 v[18:19], v[102:103], s[2:3], -v[148:149]
	v_fma_f64 v[48:49], v[88:89], s[24:25], v[100:101]
	v_fma_f64 v[50:51], v[122:123], s[24:25], -v[116:117]
	v_mul_f64 v[118:119], v[112:113], s[36:37]
	v_add_f64 v[16:17], v[4:5], v[16:17]
	v_mul_f64 v[142:143], v[94:95], s[22:23]
	v_mul_f64 v[199:200], v[86:87], s[22:23]
	s_mov_b32 s34, 0x93053d00
	v_add_f64 v[18:19], v[6:7], v[18:19]
	s_mov_b32 s35, 0xbfef11f4
	v_mul_f64 v[114:115], v[136:137], s[30:31]
	v_mul_f64 v[138:139], v[120:121], s[30:31]
	v_add_f64 v[16:17], v[48:49], v[16:17]
	v_fma_f64 v[48:49], v[106:107], s[34:35], v[104:105]
	v_fma_f64 v[126:127], v[82:83], s[18:19], v[142:143]
	v_mul_f64 v[144:145], v[108:109], s[36:37]
	v_add_f64 v[18:19], v[50:51], v[18:19]
	v_fma_f64 v[50:51], v[132:133], s[34:35], -v[118:119]
	v_fma_f64 v[130:131], v[102:103], s[18:19], -v[199:200]
	v_mul_f64 v[201:202], v[98:99], s[36:37]
	s_mov_b32 s45, 0x3fedeba7
	s_mov_b32 s44, s26
	v_add_f64 v[16:17], v[48:49], v[16:17]
	v_fma_f64 v[48:49], v[110:111], s[28:29], v[114:115]
	v_add_f64 v[126:127], v[4:5], v[126:127]
	v_add_f64 v[18:19], v[50:51], v[18:19]
	v_fma_f64 v[50:51], v[134:135], s[28:29], -v[138:139]
	v_fma_f64 v[150:151], v[88:89], s[34:35], v[144:145]
	v_add_f64 v[130:131], v[6:7], v[130:131]
	v_fma_f64 v[152:153], v[122:123], s[34:35], -v[201:202]
	v_mul_f64 v[146:147], v[124:125], s[44:45]
	v_mul_f64 v[162:163], v[112:113], s[44:45]
	s_mov_b32 s41, 0x3fddbe06
	s_mov_b32 s40, s20
	v_add_f64 v[16:17], v[48:49], v[16:17]
	v_add_f64 v[18:19], v[50:51], v[18:19]
	;; [unrolled: 1-line block ×4, first 2 shown]
	v_fma_f64 v[130:131], v[106:107], s[24:25], v[146:147]
	v_fma_f64 v[154:155], v[132:133], s[24:25], -v[162:163]
	v_mul_f64 v[150:151], v[136:137], s[40:41]
	v_mul_f64 v[166:167], v[120:121], s[40:41]
	s_mov_b32 s43, 0x3fefc445
	s_mov_b32 s42, s22
	v_add_f64 v[187:188], v[34:35], -v[38:39]
	v_add_f64 v[191:192], v[32:33], -v[36:37]
	v_mul_f64 v[126:127], v[140:141], s[42:43]
	v_mul_f64 v[152:153], v[156:157], s[42:43]
	v_add_f64 v[48:49], v[130:131], v[48:49]
	v_add_f64 v[50:51], v[154:155], v[50:51]
	v_fma_f64 v[164:165], v[110:111], s[10:11], v[150:151]
	v_fma_f64 v[171:172], v[134:135], s[10:11], -v[166:167]
	v_mul_f64 v[154:155], v[140:141], s[16:17]
	v_mul_f64 v[169:170], v[156:157], s[16:17]
	v_add_f64 v[173:174], v[32:33], v[36:37]
	v_mul_f64 v[90:91], v[187:188], s[36:37]
	v_add_f64 v[189:190], v[34:35], v[38:39]
	v_mul_f64 v[92:93], v[191:192], s[36:37]
	v_fma_f64 v[179:180], v[128:129], s[18:19], v[126:127]
	v_fma_f64 v[181:182], v[158:159], s[18:19], -v[152:153]
	v_mul_f64 v[130:131], v[187:188], s[40:41]
	v_mul_f64 v[160:161], v[191:192], s[40:41]
	v_add_f64 v[48:49], v[164:165], v[48:49]
	v_add_f64 v[50:51], v[171:172], v[50:51]
	v_fma_f64 v[183:184], v[128:129], s[2:3], v[154:155]
	v_fma_f64 v[185:186], v[158:159], s[2:3], -v[169:170]
	v_mul_f64 v[164:165], v[187:188], s[38:39]
	v_mul_f64 v[171:172], v[191:192], s[38:39]
	v_fma_f64 v[175:176], v[173:174], s[34:35], v[90:91]
	v_fma_f64 v[177:178], v[189:190], s[34:35], -v[92:93]
	v_add_f64 v[16:17], v[179:180], v[16:17]
	v_add_f64 v[18:19], v[181:182], v[18:19]
	v_fma_f64 v[179:180], v[173:174], s[10:11], v[130:131]
	v_fma_f64 v[181:182], v[189:190], s[10:11], -v[160:161]
	v_add_f64 v[183:184], v[183:184], v[48:49]
	v_add_f64 v[185:186], v[185:186], v[50:51]
	;; [unrolled: 4-line block ×3, first 2 shown]
	v_add_f64 v[48:49], v[179:180], v[16:17]
	v_add_f64 v[50:51], v[181:182], v[18:19]
	s_load_dwordx2 s[8:9], s[4:5], 0x20
	s_load_dwordx2 s[14:15], s[4:5], 0x8
	v_mul_lo_u16_e32 v0, 13, v208
	v_add_f64 v[16:17], v[193:194], v[183:184]
	v_add_f64 v[18:19], v[195:196], v[185:186]
	s_waitcnt lgkmcnt(0)
	s_barrier
	buffer_store_dword v0, off, s[52:55], 0 ; 4-byte Folded Spill
	s_and_saveexec_b64 s[4:5], s[0:1]
	s_cbranch_execz .LBB0_7
; %bb.6:
	v_mul_f64 v[203:204], v[102:103], s[34:35]
	s_mov_b32 s47, 0x3fcea1e5
	s_mov_b32 s46, s36
	v_mul_f64 v[205:206], v[122:123], s[10:11]
	v_mov_b32_e32 v1, v207
	v_mov_b32_e32 v2, v208
	v_mul_f64 v[211:212], v[94:95], s[36:37]
	v_mul_f64 v[217:218], v[132:133], s[28:29]
	v_fma_f64 v[207:208], v[86:87], s[46:47], v[203:204]
	v_mul_f64 v[231:232], v[108:109], s[40:41]
	v_mul_f64 v[215:216], v[134:135], s[2:3]
	v_fma_f64 v[229:230], v[98:99], s[20:21], v[205:206]
	v_mul_f64 v[243:244], v[124:125], s[38:39]
	v_fma_f64 v[203:204], v[86:87], s[36:37], v[203:204]
	v_fma_f64 v[235:236], v[82:83], s[34:35], v[211:212]
	;; [unrolled: 1-line block ×3, first 2 shown]
	v_add_f64 v[207:208], v[6:7], v[207:208]
	v_fma_f64 v[211:212], v[82:83], s[34:35], -v[211:212]
	s_mov_b32 s49, 0x3fea55e2
	s_mov_b32 s48, s16
	v_mul_f64 v[213:214], v[158:159], s[24:25]
	v_fma_f64 v[239:240], v[120:121], s[16:17], v[215:216]
	v_add_f64 v[235:236], v[4:5], v[235:236]
	v_mul_f64 v[245:246], v[136:137], s[48:49]
	v_add_f64 v[207:208], v[229:230], v[207:208]
	v_fma_f64 v[229:230], v[88:89], s[10:11], v[231:232]
	v_fma_f64 v[247:248], v[106:107], s[28:29], v[243:244]
	;; [unrolled: 1-line block ×3, first 2 shown]
	v_add_f64 v[203:204], v[6:7], v[203:204]
	v_fma_f64 v[231:232], v[88:89], s[10:11], -v[231:232]
	v_add_f64 v[211:212], v[4:5], v[211:212]
	v_mul_f64 v[209:210], v[189:190], s[18:19]
	v_add_f64 v[207:208], v[241:242], v[207:208]
	v_add_f64 v[229:230], v[229:230], v[235:236]
	v_fma_f64 v[237:238], v[156:157], s[44:45], v[213:214]
	v_mul_f64 v[235:236], v[140:141], s[26:27]
	v_fma_f64 v[241:242], v[110:111], s[2:3], v[245:246]
	v_fma_f64 v[217:218], v[112:113], s[38:39], v[217:218]
	v_add_f64 v[203:204], v[205:206], v[203:204]
	v_fma_f64 v[243:244], v[106:107], s[28:29], -v[243:244]
	v_add_f64 v[207:208], v[239:240], v[207:208]
	v_add_f64 v[205:206], v[247:248], v[229:230]
	;; [unrolled: 1-line block ×3, first 2 shown]
	v_fma_f64 v[233:234], v[191:192], s[22:23], v[209:210]
	v_mul_f64 v[229:230], v[187:188], s[42:43]
	v_fma_f64 v[239:240], v[128:129], s[24:25], v[235:236]
	v_fma_f64 v[215:216], v[120:121], s[48:49], v[215:216]
	v_add_f64 v[203:204], v[217:218], v[203:204]
	v_add_f64 v[207:208], v[237:238], v[207:208]
	;; [unrolled: 1-line block ×3, first 2 shown]
	v_fma_f64 v[237:238], v[110:111], s[2:3], -v[245:246]
	v_add_f64 v[211:212], v[243:244], v[211:212]
	v_fma_f64 v[217:218], v[173:174], s[18:19], v[229:230]
	v_fma_f64 v[213:214], v[156:157], s[26:27], v[213:214]
	v_fma_f64 v[229:230], v[173:174], s[18:19], -v[229:230]
	v_add_f64 v[203:204], v[215:216], v[203:204]
	v_mul_f64 v[243:244], v[124:125], s[16:17]
	v_add_f64 v[215:216], v[239:240], v[205:206]
	v_add_f64 v[205:206], v[233:234], v[207:208]
	v_mul_f64 v[233:234], v[102:103], s[28:29]
	v_fma_f64 v[207:208], v[191:192], s[42:43], v[209:210]
	v_fma_f64 v[209:210], v[128:129], s[24:25], -v[235:236]
	v_mul_f64 v[235:236], v[94:95], s[38:39]
	v_add_f64 v[211:212], v[237:238], v[211:212]
	v_add_f64 v[213:214], v[213:214], v[203:204]
	;; [unrolled: 1-line block ×3, first 2 shown]
	v_mul_f64 v[215:216], v[122:123], s[18:19]
	v_fma_f64 v[217:218], v[86:87], s[30:31], v[233:234]
	v_mul_f64 v[237:238], v[108:109], s[42:43]
	v_fma_f64 v[247:248], v[106:107], s[2:3], v[243:244]
	v_fma_f64 v[239:240], v[82:83], s[28:29], v[235:236]
	v_add_f64 v[211:212], v[209:210], v[211:212]
	v_add_f64 v[209:210], v[207:208], v[213:214]
	v_mul_f64 v[213:214], v[132:133], s[2:3]
	v_fma_f64 v[241:242], v[98:99], s[22:23], v[215:216]
	v_add_f64 v[217:218], v[6:7], v[217:218]
	v_fma_f64 v[245:246], v[88:89], s[18:19], v[237:238]
	v_fma_f64 v[215:216], v[98:99], s[42:43], v[215:216]
	v_add_f64 v[239:240], v[4:5], v[239:240]
	v_add_f64 v[207:208], v[229:230], v[211:212]
	v_fma_f64 v[229:230], v[86:87], s[38:39], v[233:234]
	v_mul_f64 v[211:212], v[134:135], s[34:35]
	v_fma_f64 v[233:234], v[112:113], s[48:49], v[213:214]
	v_add_f64 v[217:218], v[241:242], v[217:218]
	v_mul_f64 v[241:242], v[158:159], s[10:11]
	v_fma_f64 v[235:236], v[82:83], s[28:29], -v[235:236]
	v_add_f64 v[239:240], v[245:246], v[239:240]
	v_mul_f64 v[245:246], v[136:137], s[46:47]
	v_add_f64 v[229:230], v[6:7], v[229:230]
	v_fma_f64 v[249:250], v[120:121], s[36:37], v[211:212]
	v_fma_f64 v[213:214], v[112:113], s[16:17], v[213:214]
	v_add_f64 v[217:218], v[233:234], v[217:218]
	v_mul_f64 v[233:234], v[140:141], s[40:41]
	v_fma_f64 v[237:238], v[88:89], s[18:19], -v[237:238]
	v_add_f64 v[239:240], v[247:248], v[239:240]
	v_fma_f64 v[247:248], v[110:111], s[34:35], v[245:246]
	v_add_f64 v[215:216], v[215:216], v[229:230]
	v_mul_f64 v[229:230], v[189:190], s[24:25]
	v_add_f64 v[235:236], v[4:5], v[235:236]
	v_add_f64 v[217:218], v[249:250], v[217:218]
	v_fma_f64 v[249:250], v[156:157], s[20:21], v[241:242]
	buffer_store_dword v219, off, s[52:55], 0 offset:4 ; 4-byte Folded Spill
	s_nop 0
	buffer_store_dword v220, off, s[52:55], 0 offset:8 ; 4-byte Folded Spill
	buffer_store_dword v221, off, s[52:55], 0 offset:12 ; 4-byte Folded Spill
	;; [unrolled: 1-line block ×3, first 2 shown]
	v_mul_f64 v[183:184], v[102:103], s[10:11]
	v_add_f64 v[239:240], v[247:248], v[239:240]
	v_fma_f64 v[247:248], v[128:129], s[10:11], v[233:234]
	v_add_f64 v[213:214], v[213:214], v[215:216]
	v_mul_f64 v[215:216], v[187:188], s[26:27]
	v_mul_f64 v[219:220], v[102:103], s[2:3]
	;; [unrolled: 1-line block ×3, first 2 shown]
	v_fma_f64 v[211:212], v[120:121], s[46:47], v[211:212]
	v_fma_f64 v[243:244], v[106:107], s[2:3], -v[243:244]
	v_add_f64 v[235:236], v[237:238], v[235:236]
	v_add_f64 v[217:218], v[249:250], v[217:218]
	v_fma_f64 v[249:250], v[191:192], s[44:45], v[229:230]
	v_add_f64 v[239:240], v[247:248], v[239:240]
	v_fma_f64 v[247:248], v[173:174], s[24:25], v[215:216]
	v_mul_f64 v[102:103], v[102:103], s[24:25]
	v_mul_f64 v[181:182], v[122:123], s[2:3]
	;; [unrolled: 1-line block ×4, first 2 shown]
	v_add_f64 v[251:252], v[211:212], v[213:214]
	v_add_f64 v[235:236], v[243:244], v[235:236]
	;; [unrolled: 1-line block ×3, first 2 shown]
	v_fma_f64 v[217:218], v[110:111], s[34:35], -v[245:246]
	v_fma_f64 v[241:242], v[156:157], s[40:41], v[241:242]
	v_add_f64 v[211:212], v[247:248], v[239:240]
	v_mul_f64 v[122:123], v[122:123], s[28:29]
	v_mul_f64 v[94:95], v[94:95], s[26:27]
	v_fma_f64 v[239:240], v[86:87], s[44:45], v[102:103]
	v_fma_f64 v[86:87], v[86:87], s[26:27], v[102:103]
	v_mul_f64 v[197:198], v[132:133], s[18:19]
	v_mul_f64 v[237:238], v[132:133], s[34:35]
	;; [unrolled: 1-line block ×3, first 2 shown]
	v_fma_f64 v[229:230], v[191:192], s[26:27], v[229:230]
	v_fma_f64 v[233:234], v[128:129], s[10:11], -v[233:234]
	v_add_f64 v[217:218], v[217:218], v[235:236]
	v_add_f64 v[235:236], v[241:242], v[251:252]
	v_fma_f64 v[241:242], v[98:99], s[38:39], v[122:123]
	v_mul_f64 v[108:109], v[108:109], s[30:31]
	v_fma_f64 v[245:246], v[82:83], s[24:25], v[94:95]
	v_add_f64 v[239:240], v[6:7], v[239:240]
	v_mul_f64 v[132:133], v[132:133], s[10:11]
	v_fma_f64 v[98:99], v[98:99], s[30:31], v[122:123]
	v_add_f64 v[86:87], v[6:7], v[86:87]
	v_mul_f64 v[175:176], v[82:83], s[10:11]
	v_mul_f64 v[177:178], v[82:83], s[2:3]
	v_mul_f64 v[195:196], v[82:83], s[18:19]
	v_add_f64 v[233:234], v[233:234], v[217:218]
	v_add_f64 v[217:218], v[229:230], v[235:236]
	v_mul_f64 v[229:230], v[134:135], s[18:19]
	v_mul_f64 v[124:125], v[124:125], s[40:41]
	v_fma_f64 v[235:236], v[88:89], s[28:29], v[108:109]
	v_add_f64 v[245:246], v[4:5], v[245:246]
	v_add_f64 v[239:240], v[241:242], v[239:240]
	v_fma_f64 v[241:242], v[112:113], s[20:21], v[132:133]
	v_fma_f64 v[112:113], v[112:113], s[40:41], v[132:133]
	v_add_f64 v[86:87], v[98:99], v[86:87]
	v_fma_f64 v[82:83], v[82:83], s[24:25], -v[94:95]
	v_mul_f64 v[179:180], v[88:89], s[2:3]
	v_mul_f64 v[185:186], v[88:89], s[24:25]
	;; [unrolled: 1-line block ×3, first 2 shown]
	v_fma_f64 v[247:248], v[120:121], s[42:43], v[229:230]
	v_fma_f64 v[102:103], v[106:107], s[10:11], v[124:125]
	v_add_f64 v[235:236], v[235:236], v[245:246]
	v_mul_f64 v[136:137], v[136:137], s[22:23]
	v_mul_f64 v[98:99], v[158:159], s[34:35]
	v_fma_f64 v[120:121], v[120:121], s[22:23], v[229:230]
	v_add_f64 v[86:87], v[112:113], v[86:87]
	v_fma_f64 v[88:89], v[88:89], s[28:29], -v[108:109]
	v_add_f64 v[82:83], v[4:5], v[82:83]
	v_mul_f64 v[193:194], v[106:107], s[18:19]
	v_mul_f64 v[231:232], v[106:107], s[34:35]
	;; [unrolled: 1-line block ×3, first 2 shown]
	v_fma_f64 v[215:216], v[173:174], s[24:25], -v[215:216]
	v_add_f64 v[239:240], v[241:242], v[239:240]
	v_add_f64 v[102:103], v[102:103], v[235:236]
	v_fma_f64 v[235:236], v[110:111], s[18:19], v[136:137]
	v_fma_f64 v[112:113], v[156:157], s[36:37], v[98:99]
	;; [unrolled: 1-line block ×3, first 2 shown]
	v_mul_f64 v[108:109], v[189:190], s[2:3]
	v_add_f64 v[86:87], v[120:121], v[86:87]
	v_mul_f64 v[140:141], v[140:141], s[46:47]
	v_fma_f64 v[106:107], v[106:107], s[10:11], -v[124:125]
	v_add_f64 v[82:83], v[88:89], v[82:83]
	v_add_f64 v[215:216], v[215:216], v[233:234]
	v_mul_f64 v[233:234], v[110:111], s[24:25]
	v_mul_f64 v[245:246], v[110:111], s[28:29]
	v_add_f64 v[239:240], v[247:248], v[239:240]
	v_mul_f64 v[247:248], v[110:111], s[10:11]
	v_add_f64 v[102:103], v[235:236], v[102:103]
	v_fma_f64 v[88:89], v[191:192], s[16:17], v[108:109]
	v_fma_f64 v[108:109], v[191:192], s[48:49], v[108:109]
	v_add_f64 v[86:87], v[98:99], v[86:87]
	v_fma_f64 v[98:99], v[128:129], s[34:35], v[140:141]
	v_fma_f64 v[110:111], v[110:111], s[18:19], -v[136:137]
	v_add_f64 v[82:83], v[106:107], v[82:83]
	v_add_f64 v[199:200], v[199:200], v[221:222]
	;; [unrolled: 1-line block ×3, first 2 shown]
	v_mul_f64 v[241:242], v[134:135], s[24:25]
	v_mul_f64 v[122:123], v[134:135], s[28:29]
	;; [unrolled: 1-line block ×3, first 2 shown]
	v_add_f64 v[98:99], v[98:99], v[102:103]
	v_fma_f64 v[102:103], v[128:129], s[34:35], -v[140:141]
	v_add_f64 v[110:111], v[110:111], v[82:83]
	v_add_f64 v[82:83], v[108:109], v[86:87]
	;; [unrolled: 1-line block ×6, first 2 shown]
	v_add_f64 v[142:143], v[195:196], -v[142:143]
	v_add_f64 v[8:9], v[8:9], v[12:13]
	v_add_f64 v[102:103], v[102:103], v[110:111]
	;; [unrolled: 1-line block ×3, first 2 shown]
	v_mul_f64 v[235:236], v[158:159], s[28:29]
	v_add_f64 v[86:87], v[86:87], v[108:109]
	v_add_f64 v[108:109], v[116:117], v[223:224]
	;; [unrolled: 1-line block ×3, first 2 shown]
	v_mul_f64 v[229:230], v[158:159], s[18:19]
	v_mul_f64 v[158:159], v[158:159], s[2:3]
	v_add_f64 v[10:11], v[10:11], v[14:15]
	v_add_f64 v[12:13], v[166:167], v[134:135]
	v_add_f64 v[14:15], v[225:226], -v[144:145]
	v_add_f64 v[134:135], v[4:5], v[142:143]
	v_add_f64 v[86:87], v[110:111], v[86:87]
	;; [unrolled: 1-line block ×7, first 2 shown]
	v_add_f64 v[22:23], v[253:254], -v[146:147]
	v_add_f64 v[14:15], v[14:15], v[134:135]
	v_add_f64 v[12:13], v[12:13], v[86:87]
	;; [unrolled: 1-line block ×7, first 2 shown]
	v_mul_f64 v[124:125], v[189:190], s[34:35]
	v_add_f64 v[14:15], v[22:23], v[14:15]
	v_add_f64 v[12:13], v[20:21], v[12:13]
	;; [unrolled: 1-line block ×7, first 2 shown]
	v_add_f64 v[66:67], v[179:180], -v[68:69]
	v_mul_f64 v[187:188], v[187:188], s[48:49]
	v_mul_f64 v[136:137], v[189:190], s[10:11]
	;; [unrolled: 1-line block ×3, first 2 shown]
	v_add_f64 v[20:21], v[20:21], v[22:23]
	v_add_f64 v[8:9], v[8:9], v[32:33]
	v_add_f64 v[22:23], v[175:176], -v[64:65]
	v_add_f64 v[64:65], v[70:71], v[181:182]
	v_add_f64 v[10:11], v[10:11], v[34:35]
	v_fma_f64 v[221:222], v[173:174], s[2:3], v[187:188]
	v_add_f64 v[32:33], v[177:178], -v[96:97]
	v_add_f64 v[24:25], v[171:172], v[189:190]
	v_add_f64 v[34:35], v[185:186], -v[100:101]
	v_add_f64 v[8:9], v[8:9], v[36:37]
	v_add_f64 v[22:23], v[4:5], v[22:23]
	;; [unrolled: 1-line block ×5, first 2 shown]
	v_add_f64 v[38:39], v[193:194], -v[72:73]
	v_add_f64 v[4:5], v[4:5], v[32:33]
	v_add_f64 v[32:33], v[231:232], -v[104:105]
	v_add_f64 v[8:9], v[8:9], v[40:41]
	v_add_f64 v[22:23], v[66:67], v[22:23]
	v_add_f64 v[40:41], v[78:79], v[241:242]
	v_add_f64 v[6:7], v[36:37], v[6:7]
	v_add_f64 v[10:11], v[10:11], v[42:43]
	v_mul_f64 v[132:133], v[128:129], s[28:29]
	v_add_f64 v[4:5], v[34:35], v[4:5]
	v_add_f64 v[36:37], v[233:234], -v[76:77]
	v_add_f64 v[8:9], v[8:9], v[44:45]
	v_add_f64 v[22:23], v[38:39], v[22:23]
	;; [unrolled: 1-line block ×5, first 2 shown]
	v_mul_f64 v[94:95], v[128:129], s[18:19]
	v_add_f64 v[34:35], v[245:246], -v[114:115]
	v_add_f64 v[4:5], v[32:33], v[4:5]
	v_mul_f64 v[156:157], v[128:129], s[2:3]
	v_add_f64 v[26:27], v[247:248], -v[150:151]
	v_add_f64 v[8:9], v[8:9], v[52:53]
	v_add_f64 v[38:39], v[38:39], v[6:7]
	;; [unrolled: 1-line block ×4, first 2 shown]
	buffer_load_dword v219, off, s[52:55], 0 offset:4 ; 4-byte Folded Reload
	buffer_load_dword v220, off, s[52:55], 0 offset:8 ; 4-byte Folded Reload
	;; [unrolled: 1-line block ×4, first 2 shown]
	buffer_load_dword v0, off, s[52:55], 0  ; 4-byte Folded Reload
	v_add_f64 v[10:11], v[10:11], v[54:55]
	v_mul_f64 v[120:121], v[173:174], s[34:35]
	v_add_f64 v[40:41], v[132:133], -v[80:81]
	v_add_f64 v[22:23], v[36:37], v[22:23]
	v_mul_f64 v[191:192], v[173:174], s[10:11]
	v_add_f64 v[32:33], v[94:95], -v[126:127]
	v_add_f64 v[4:5], v[34:35], v[4:5]
	v_mul_f64 v[106:107], v[173:174], s[28:29]
	v_add_f64 v[30:31], v[156:157], -v[154:155]
	v_add_f64 v[14:15], v[26:27], v[14:15]
	v_add_f64 v[26:27], v[160:161], v[136:137]
	v_add_f64 v[44:45], v[10:11], v[58:59]
	v_add_f64 v[8:9], v[8:9], v[56:57]
	v_add_f64 v[36:37], v[92:93], v[124:125]
	v_add_f64 v[42:43], v[120:121], -v[90:91]
	v_add_f64 v[40:41], v[40:41], v[22:23]
	v_add_f64 v[34:35], v[191:192], -v[130:131]
	v_add_f64 v[4:5], v[32:33], v[4:5]
	v_add_f64 v[112:113], v[112:113], v[239:240]
	v_add_f64 v[28:29], v[106:107], -v[164:165]
	v_add_f64 v[30:31], v[30:31], v[14:15]
	v_fma_f64 v[128:129], v[173:174], s[2:3], -v[187:188]
	v_add_f64 v[10:11], v[26:27], v[20:21]
	v_add_f64 v[22:23], v[44:45], v[62:63]
	;; [unrolled: 1-line block ×9, first 2 shown]
	s_waitcnt vmcnt(0)
	v_lshlrev_b32_e32 v0, 4, v0
	ds_write_b128 v0, v[20:23]
	ds_write_b128 v0, v[12:15] offset:16
	ds_write_b128 v0, v[8:11] offset:32
	;; [unrolled: 1-line block ×6, first 2 shown]
	v_mov_b32_e32 v208, v2
	v_mov_b32_e32 v207, v1
	ds_write_b128 v0, v[203:206] offset:112
	ds_write_b128 v0, v[211:214] offset:128
	ds_write_b128 v0, v[24:27] offset:144
	ds_write_b128 v0, v[16:19] offset:160
	ds_write_b128 v0, v[48:51] offset:176
	ds_write_b128 v0, v[219:222] offset:192
.LBB0_7:
	s_or_b64 exec, exec, s[4:5]
	s_waitcnt vmcnt(0) lgkmcnt(0)
	s_barrier
	ds_read_b128 v[12:15], v255
	ds_read_b128 v[20:23], v255 offset:2496
	ds_read_b128 v[56:59], v255 offset:16224
	;; [unrolled: 1-line block ×9, first 2 shown]
	s_movk_i32 s2, 0x4e
	v_cmp_gt_u16_e64 s[2:3], s2, v208
	s_and_saveexec_b64 s[4:5], s[2:3]
	s_cbranch_execz .LBB0_9
; %bb.8:
	ds_read_b128 v[16:19], v255 offset:12480
	ds_read_b128 v[48:51], v255 offset:26208
.LBB0_9:
	s_or_b64 exec, exec, s[4:5]
	s_movk_i32 s4, 0x138
	v_add_co_u32_e32 v0, vcc, s4, v208
	s_movk_i32 s4, 0x1d4
	v_add_co_u32_e32 v1, vcc, s4, v208
	;; [unrolled: 2-line block ×3, first 2 shown]
	s_movk_i32 s4, 0x4f
	v_mul_lo_u16_sdwa v3, v208, s4 dst_sel:DWORD dst_unused:UNUSED_PAD src0_sel:BYTE_0 src1_sel:DWORD
	v_lshrrev_b16_e32 v3, 10, v3
	v_add_u16_e32 v116, 0x9c, v208
	v_mul_lo_u16_e32 v4, 13, v3
	v_mul_u32_u24_e32 v6, 0x4ec5, v116
	v_sub_u16_e32 v4, v208, v4
	v_lshrrev_b32_e32 v6, 18, v6
	v_and_b32_e32 v4, 0xff, v4
	v_mul_lo_u16_e32 v7, 13, v6
	v_lshlrev_b32_e32 v5, 4, v4
	s_movk_i32 s4, 0x4ec5
	v_sub_u16_e32 v7, v116, v7
	v_lshlrev_b32_e32 v8, 4, v7
	global_load_dwordx4 v[28:31], v5, s[14:15]
	global_load_dwordx4 v[24:27], v8, s[14:15]
	v_mul_u32_u24_sdwa v5, v0, s4 dst_sel:DWORD dst_unused:UNUSED_PAD src0_sel:WORD_0 src1_sel:DWORD
	v_lshrrev_b32_e32 v5, 18, v5
	v_mul_u32_u24_sdwa v9, v1, s4 dst_sel:DWORD dst_unused:UNUSED_PAD src0_sel:WORD_0 src1_sel:DWORD
	v_mul_lo_u16_e32 v8, 13, v5
	v_lshrrev_b32_e32 v9, 18, v9
	v_sub_u16_e32 v0, v0, v8
	v_mul_lo_u16_e32 v10, 13, v9
	v_lshlrev_b32_e32 v8, 4, v0
	v_sub_u16_e32 v1, v1, v10
	v_lshlrev_b32_e32 v10, 4, v1
	global_load_dwordx4 v[251:254], v8, s[14:15]
	global_load_dwordx4 v[33:36], v10, s[14:15]
	v_mul_u32_u24_sdwa v8, v2, s4 dst_sel:DWORD dst_unused:UNUSED_PAD src0_sel:WORD_0 src1_sel:DWORD
	v_add_u16_e32 v11, 0x30c, v208
	v_lshrrev_b32_e32 v8, 18, v8
	v_mul_u32_u24_e32 v32, 0x4ec5, v11
	v_mul_lo_u16_e32 v10, 13, v8
	v_lshrrev_b32_e32 v223, 18, v32
	v_sub_u16_e32 v2, v2, v10
	v_mul_lo_u16_e32 v32, 13, v223
	v_lshlrev_b32_e32 v10, 4, v2
	v_sub_u16_e32 v224, v11, v32
	global_load_dwordx4 v[100:103], v10, s[14:15]
	v_lshlrev_b32_e32 v10, 4, v224
	global_load_dwordx4 v[104:107], v10, s[14:15]
	s_load_dwordx4 s[8:11], s[8:9], 0x0
	s_waitcnt vmcnt(0) lgkmcnt(0)
	s_barrier
	v_mul_u32_u24_e32 v3, 26, v3
	v_mad_legacy_u16 v6, v6, 26, v7
	v_mad_legacy_u16 v0, v5, 26, v0
	;; [unrolled: 1-line block ×4, first 2 shown]
	v_add_lshl_u32 v230, v3, v4, 4
	v_lshlrev_b32_e32 v229, 4, v6
	v_lshlrev_b32_e32 v3, 4, v0
	;; [unrolled: 1-line block ×4, first 2 shown]
	v_mul_f64 v[76:77], v[74:75], v[30:31]
	v_mul_f64 v[78:79], v[72:73], v[30:31]
	;; [unrolled: 1-line block ×4, first 2 shown]
	v_fma_f64 v[72:73], v[72:73], v[28:29], -v[76:77]
	v_fma_f64 v[74:75], v[74:75], v[28:29], v[78:79]
	v_fma_f64 v[56:57], v[56:57], v[24:25], -v[80:81]
	v_mul_f64 v[84:85], v[62:63], v[253:254]
	v_mul_f64 v[88:89], v[70:71], v[35:36]
	;; [unrolled: 1-line block ×4, first 2 shown]
	v_fma_f64 v[58:59], v[58:59], v[24:25], v[82:83]
	v_add_f64 v[56:57], v[20:21], -v[56:57]
	v_fma_f64 v[60:61], v[60:61], v[251:252], -v[84:85]
	v_fma_f64 v[68:69], v[68:69], v[33:34], -v[88:89]
	v_fma_f64 v[70:71], v[70:71], v[33:34], v[90:91]
	v_fma_f64 v[62:63], v[62:63], v[251:252], v[86:87]
	v_mul_f64 v[92:93], v[66:67], v[102:103]
	v_mul_f64 v[94:95], v[64:65], v[102:103]
	;; [unrolled: 1-line block ×4, first 2 shown]
	v_add_f64 v[58:59], v[22:23], -v[58:59]
	v_add_f64 v[60:61], v[44:45], -v[60:61]
	v_fma_f64 v[20:21], v[20:21], 2.0, -v[56:57]
	v_add_f64 v[62:63], v[46:47], -v[62:63]
	v_fma_f64 v[64:65], v[64:65], v[100:101], -v[92:93]
	buffer_store_dword v100, off, s[52:55], 0 offset:4 ; 4-byte Folded Spill
	s_nop 0
	buffer_store_dword v101, off, s[52:55], 0 offset:8 ; 4-byte Folded Spill
	buffer_store_dword v102, off, s[52:55], 0 offset:12 ; 4-byte Folded Spill
	;; [unrolled: 1-line block ×3, first 2 shown]
	v_fma_f64 v[76:77], v[48:49], v[104:105], -v[96:97]
	buffer_store_dword v104, off, s[52:55], 0 offset:20 ; 4-byte Folded Spill
	s_nop 0
	buffer_store_dword v105, off, s[52:55], 0 offset:24 ; 4-byte Folded Spill
	buffer_store_dword v106, off, s[52:55], 0 offset:28 ; 4-byte Folded Spill
	;; [unrolled: 1-line block ×3, first 2 shown]
	v_add_f64 v[48:49], v[12:13], -v[72:73]
	v_add_f64 v[72:73], v[40:41], -v[68:69]
	v_fma_f64 v[22:23], v[22:23], 2.0, -v[58:59]
	v_fma_f64 v[44:45], v[44:45], 2.0, -v[60:61]
	v_add_f64 v[80:81], v[52:53], -v[64:65]
	v_fma_f64 v[46:47], v[46:47], 2.0, -v[62:63]
	v_add_f64 v[88:89], v[16:17], -v[76:77]
	v_fma_f64 v[12:13], v[12:13], 2.0, -v[48:49]
	v_fma_f64 v[68:69], v[40:41], 2.0, -v[72:73]
	;; [unrolled: 1-line block ×3, first 2 shown]
	v_fma_f64 v[66:67], v[66:67], v[100:101], v[94:95]
	v_fma_f64 v[100:101], v[16:17], 2.0, -v[88:89]
	v_fma_f64 v[78:79], v[50:51], v[104:105], v[98:99]
	v_add_f64 v[50:51], v[14:15], -v[74:75]
	v_add_f64 v[74:75], v[42:43], -v[70:71]
	;; [unrolled: 1-line block ×4, first 2 shown]
	v_fma_f64 v[14:15], v[14:15], 2.0, -v[50:51]
	v_fma_f64 v[70:71], v[42:43], 2.0, -v[74:75]
	ds_write_b128 v230, v[48:51] offset:208
	ds_write_b128 v230, v[12:15]
	ds_write_b128 v229, v[20:23]
	ds_write_b128 v229, v[56:59] offset:208
	ds_write_b128 v3, v[44:47]
	v_fma_f64 v[86:87], v[54:55], 2.0, -v[82:83]
	v_fma_f64 v[102:103], v[18:19], 2.0, -v[90:91]
	buffer_store_dword v3, off, s[52:55], 0 offset:44 ; 4-byte Folded Spill
	ds_write_b128 v3, v[60:63] offset:208
	ds_write_b128 v1, v[68:71]
	buffer_store_dword v1, off, s[52:55], 0 offset:40 ; 4-byte Folded Spill
	ds_write_b128 v1, v[72:75] offset:208
	ds_write_b128 v0, v[84:87]
	buffer_store_dword v0, off, s[52:55], 0 offset:36 ; 4-byte Folded Spill
	ds_write_b128 v0, v[80:83] offset:208
	s_and_saveexec_b64 s[4:5], s[2:3]
	s_cbranch_execz .LBB0_11
; %bb.10:
	v_mad_legacy_u16 v0, v223, 26, v224
	v_lshlrev_b32_e32 v0, 4, v0
	ds_write_b128 v0, v[100:103]
	ds_write_b128 v0, v[88:91] offset:208
.LBB0_11:
	s_or_b64 exec, exec, s[4:5]
	s_waitcnt vmcnt(0) lgkmcnt(0)
	s_barrier
	ds_read_b128 v[76:79], v255
	ds_read_b128 v[112:115], v255 offset:4576
	ds_read_b128 v[108:111], v255 offset:9152
	;; [unrolled: 1-line block ×5, first 2 shown]
	s_movk_i32 s4, 0x82
	v_cmp_gt_u16_e64 s[4:5], s4, v208
	s_and_saveexec_b64 s[16:17], s[4:5]
	s_cbranch_execz .LBB0_13
; %bb.12:
	ds_read_b128 v[68:71], v255 offset:2496
	ds_read_b128 v[72:75], v255 offset:7072
	ds_read_b128 v[84:87], v255 offset:11648
	ds_read_b128 v[80:83], v255 offset:16224
	ds_read_b128 v[100:103], v255 offset:20800
	ds_read_b128 v[88:91], v255 offset:25376
.LBB0_13:
	s_or_b64 exec, exec, s[16:17]
	v_mul_u32_u24_e32 v2, 0x4ec5, v116
	v_lshrrev_b32_e32 v213, 19, v2
	v_mul_lo_u16_e32 v2, 26, v213
	v_sub_u16_e32 v214, v116, v2
	s_movk_i32 s16, 0x4f
	v_mul_lo_u16_e32 v2, 0x50, v214
	v_mul_lo_u16_sdwa v0, v208, s16 dst_sel:DWORD dst_unused:UNUSED_PAD src0_sel:BYTE_0 src1_sel:DWORD
	v_mov_b32_e32 v3, s15
	v_add_co_u32_e32 v12, vcc, s14, v2
	v_lshrrev_b16_e32 v0, 11, v0
	v_addc_co_u32_e32 v13, vcc, 0, v3, vcc
	v_mul_lo_u16_e32 v1, 26, v0
	global_load_dwordx4 v[235:238], v[12:13], off offset:240
	global_load_dwordx4 v[247:250], v[12:13], off offset:224
	v_sub_u16_e32 v1, v208, v1
	v_mov_b32_e32 v14, s14
	v_and_b32_e32 v1, 0xff, v1
	s_movk_i32 s16, 0x50
	v_mov_b32_e32 v15, s15
	v_mad_u64_u32 v[14:15], s[16:17], v1, s16, v[14:15]
	global_load_dwordx4 v[241:244], v[12:13], off offset:256
	global_load_dwordx4 v[2:5], v[12:13], off offset:272
	;; [unrolled: 1-line block ×8, first 2 shown]
	s_waitcnt vmcnt(0) lgkmcnt(0)
	s_barrier
	s_mov_b32 s16, 0xe8584caa
	s_mov_b32 s17, 0x3febb67a
	;; [unrolled: 1-line block ×4, first 2 shown]
	v_mul_u32_u24_e32 v0, 0x9c, v0
	s_movk_i32 s20, 0x9c
	v_add_lshl_u32 v168, v0, v1, 4
	v_mul_f64 v[18:19], v[80:81], v[237:238]
	v_mul_f64 v[12:13], v[86:87], v[249:250]
	;; [unrolled: 1-line block ×8, first 2 shown]
	v_fma_f64 v[120:121], v[82:83], v[235:236], v[18:19]
	v_mul_f64 v[148:149], v[74:75], v[8:9]
	v_fma_f64 v[116:117], v[84:85], v[247:248], -v[12:13]
	v_fma_f64 v[82:83], v[88:89], v[2:3], -v[124:125]
	buffer_store_dword v2, off, s[52:55], 0 offset:64 ; 4-byte Folded Spill
	s_nop 0
	buffer_store_dword v3, off, s[52:55], 0 offset:68 ; 4-byte Folded Spill
	buffer_store_dword v4, off, s[52:55], 0 offset:72 ; 4-byte Folded Spill
	;; [unrolled: 1-line block ×3, first 2 shown]
	v_fma_f64 v[12:13], v[112:113], v[37:38], -v[128:129]
	buffer_store_dword v37, off, s[52:55], 0 offset:48 ; 4-byte Folded Spill
	s_nop 0
	buffer_store_dword v38, off, s[52:55], 0 offset:52 ; 4-byte Folded Spill
	buffer_store_dword v39, off, s[52:55], 0 offset:56 ; 4-byte Folded Spill
	;; [unrolled: 1-line block ×3, first 2 shown]
	v_mul_f64 v[150:151], v[72:73], v[8:9]
	v_mul_f64 v[22:23], v[100:101], v[243:244]
	v_fma_f64 v[72:73], v[72:73], v[6:7], -v[148:149]
	buffer_store_dword v6, off, s[52:55], 0 offset:80 ; 4-byte Folded Spill
	s_nop 0
	buffer_store_dword v7, off, s[52:55], 0 offset:84 ; 4-byte Folded Spill
	buffer_store_dword v8, off, s[52:55], 0 offset:88 ; 4-byte Folded Spill
	;; [unrolled: 1-line block ×3, first 2 shown]
	v_mul_f64 v[134:135], v[108:109], v[66:67]
	v_mul_f64 v[138:139], v[104:105], v[54:55]
	;; [unrolled: 1-line block ×9, first 2 shown]
	v_fma_f64 v[122:123], v[86:87], v[247:248], v[14:15]
	v_fma_f64 v[118:119], v[80:81], v[235:236], -v[16:17]
	v_fma_f64 v[84:85], v[102:103], v[241:242], v[22:23]
	v_fma_f64 v[18:19], v[110:111], v[64:65], v[134:135]
	;; [unrolled: 1-line block ×4, first 2 shown]
	v_fma_f64 v[80:81], v[100:101], v[241:242], -v[20:21]
	v_fma_f64 v[16:17], v[108:109], v[64:65], -v[132:133]
	;; [unrolled: 1-line block ×5, first 2 shown]
	v_fma_f64 v[106:107], v[98:99], v[60:61], v[142:143]
	v_add_f64 v[102:103], v[118:119], v[82:83]
	v_add_f64 v[134:135], v[22:23], -v[110:111]
	v_add_f64 v[100:101], v[118:119], -v[82:83]
	v_add_f64 v[128:129], v[78:79], v[18:19]
	v_add_f64 v[92:93], v[122:123], v[84:85]
	;; [unrolled: 1-line block ×4, first 2 shown]
	v_add_f64 v[88:89], v[116:117], -v[80:81]
	v_fma_f64 v[104:105], v[102:103], -0.5, v[72:73]
	v_fma_f64 v[92:93], v[92:93], -0.5, v[70:71]
	v_fma_f64 v[86:87], v[90:91], v[2:3], v[126:127]
	v_add_f64 v[126:127], v[18:19], -v[106:107]
	v_fma_f64 v[14:15], v[114:115], v[37:38], v[130:131]
	v_add_f64 v[114:115], v[76:77], v[16:17]
	v_add_f64 v[18:19], v[18:19], v[106:107]
	;; [unrolled: 1-line block ×3, first 2 shown]
	v_fma_f64 v[94:95], v[74:75], v[6:7], v[150:151]
	v_add_f64 v[20:21], v[20:21], -v[108:109]
	v_add_f64 v[112:113], v[120:121], v[86:87]
	v_add_f64 v[98:99], v[120:121], -v[86:87]
	v_add_f64 v[136:137], v[14:15], v[22:23]
	v_add_f64 v[22:23], v[22:23], v[110:111]
	v_fma_f64 v[12:13], v[132:133], -0.5, v[12:13]
	v_add_f64 v[90:91], v[116:117], v[80:81]
	v_add_f64 v[16:17], v[16:17], -v[96:97]
	v_add_f64 v[138:139], v[114:115], v[96:97]
	v_fma_f64 v[102:103], v[112:113], -0.5, v[94:95]
	v_fma_f64 v[96:97], v[124:125], -0.5, v[76:77]
	v_add_f64 v[106:107], v[128:129], v[106:107]
	v_fma_f64 v[14:15], v[22:23], -0.5, v[14:15]
	v_fma_f64 v[18:19], v[18:19], -0.5, v[78:79]
	v_add_f64 v[22:23], v[136:137], v[110:111]
	v_fma_f64 v[110:111], v[98:99], s[18:19], v[104:105]
	v_add_f64 v[108:109], v[130:131], v[108:109]
	v_fma_f64 v[124:125], v[100:101], s[16:17], v[102:103]
	v_fma_f64 v[130:131], v[134:135], s[18:19], v[12:13]
	;; [unrolled: 1-line block ×5, first 2 shown]
	v_add_f64 v[74:75], v[122:123], -v[84:85]
	v_fma_f64 v[90:91], v[90:91], -0.5, v[68:69]
	v_fma_f64 v[136:137], v[126:127], s[16:17], v[96:97]
	v_fma_f64 v[20:21], v[126:127], s[18:19], v[96:97]
	;; [unrolled: 1-line block ×4, first 2 shown]
	v_mul_f64 v[18:19], v[110:111], -0.5
	v_mul_f64 v[126:127], v[128:129], s[16:17]
	v_mul_f64 v[144:145], v[124:125], -0.5
	v_mul_f64 v[134:135], v[12:13], s[18:19]
	v_mul_f64 v[132:133], v[130:131], -0.5
	v_mul_f64 v[140:141], v[14:15], -0.5
	v_fma_f64 v[76:77], v[74:75], s[18:19], v[90:91]
	v_fma_f64 v[78:79], v[88:89], s[16:17], v[92:93]
	v_add_f64 v[114:115], v[106:107], v[22:23]
	v_fma_f64 v[96:97], v[124:125], s[16:17], v[18:19]
	v_fma_f64 v[12:13], v[12:13], 0.5, v[126:127]
	v_add_f64 v[126:127], v[106:107], -v[22:23]
	v_fma_f64 v[106:107], v[110:111], s[18:19], v[144:145]
	v_fma_f64 v[18:19], v[128:129], 0.5, v[134:135]
	v_fma_f64 v[14:15], v[14:15], s[16:17], v[132:133]
	v_fma_f64 v[146:147], v[130:131], s[18:19], v[140:141]
	v_add_f64 v[112:113], v[138:139], v[108:109]
	v_add_f64 v[124:125], v[138:139], -v[108:109]
	v_add_f64 v[108:109], v[76:77], -v[96:97]
	v_add_f64 v[128:129], v[136:137], v[12:13]
	v_add_f64 v[110:111], v[78:79], -v[106:107]
	v_add_f64 v[130:131], v[142:143], v[18:19]
	v_add_f64 v[132:133], v[20:21], v[14:15]
	;; [unrolled: 1-line block ×3, first 2 shown]
	v_add_f64 v[136:137], v[136:137], -v[12:13]
	v_add_f64 v[138:139], v[142:143], -v[18:19]
	;; [unrolled: 1-line block ×4, first 2 shown]
	ds_write_b128 v168, v[112:115]
	ds_write_b128 v168, v[124:127] offset:1248
	ds_write_b128 v168, v[128:131] offset:416
	ds_write_b128 v168, v[132:135] offset:832
	ds_write_b128 v168, v[136:139] offset:1664
	ds_write_b128 v168, v[140:143] offset:2080
	s_and_saveexec_b64 s[18:19], s[4:5]
	s_cbranch_execz .LBB0_15
; %bb.14:
	v_mul_f64 v[12:13], v[98:99], s[16:17]
	v_mul_f64 v[14:15], v[100:101], s[16:17]
	v_add_f64 v[16:17], v[70:71], v[122:123]
	v_add_f64 v[18:19], v[94:95], v[120:121]
	;; [unrolled: 1-line block ×4, first 2 shown]
	v_mul_f64 v[68:69], v[74:75], s[16:17]
	v_mul_f64 v[72:73], v[88:89], s[16:17]
	v_add_f64 v[12:13], v[12:13], v[104:105]
	v_add_f64 v[14:15], v[102:103], -v[14:15]
	v_add_f64 v[16:17], v[16:17], v[84:85]
	v_add_f64 v[18:19], v[18:19], v[86:87]
	;; [unrolled: 1-line block ×5, first 2 shown]
	v_add_f64 v[80:81], v[92:93], -v[72:73]
	v_mul_f64 v[74:75], v[12:13], s[16:17]
	v_mul_f64 v[84:85], v[14:15], s[16:17]
	v_add_f64 v[70:71], v[78:79], v[106:107]
	v_add_f64 v[68:69], v[76:77], v[96:97]
	;; [unrolled: 1-line block ×4, first 2 shown]
	v_add_f64 v[72:73], v[20:21], -v[22:23]
	v_mad_legacy_u16 v0, v213, s20, v214
	v_fma_f64 v[14:15], v[14:15], 0.5, -v[74:75]
	v_fma_f64 v[12:13], v[12:13], 0.5, v[84:85]
	v_add_f64 v[74:75], v[16:17], -v[18:19]
	v_lshlrev_b32_e32 v0, 4, v0
	v_add_f64 v[86:87], v[80:81], v[14:15]
	v_add_f64 v[84:85], v[88:89], v[12:13]
	v_add_f64 v[82:83], v[80:81], -v[14:15]
	v_add_f64 v[80:81], v[88:89], -v[12:13]
	ds_write_b128 v0, v[68:71] offset:832
	ds_write_b128 v0, v[76:79]
	ds_write_b128 v0, v[72:75] offset:1248
	ds_write_b128 v0, v[84:87] offset:416
	;; [unrolled: 1-line block ×4, first 2 shown]
.LBB0_15:
	s_or_b64 exec, exec, s[18:19]
	v_mov_b32_e32 v12, s14
	s_movk_i32 s16, 0xa0
	v_mov_b32_e32 v13, s15
	v_mad_u64_u32 v[12:13], s[14:15], v208, s16, v[12:13]
	s_waitcnt vmcnt(0) lgkmcnt(0)
	s_barrier
	global_load_dwordx4 v[104:107], v[12:13], off offset:2288
	global_load_dwordx4 v[96:99], v[12:13], off offset:2304
	;; [unrolled: 1-line block ×10, first 2 shown]
	ds_read_b128 v[114:117], v255
	ds_read_b128 v[118:121], v255 offset:2496
	ds_read_b128 v[122:125], v255 offset:4992
	;; [unrolled: 1-line block ×10, first 2 shown]
	s_mov_b32 s30, 0xf8bb580b
	s_mov_b32 s31, 0xbfe14ced
	;; [unrolled: 1-line block ×26, first 2 shown]
	s_waitcnt vmcnt(9) lgkmcnt(9)
	v_mul_f64 v[14:15], v[118:119], v[106:107]
	v_mul_f64 v[12:13], v[120:121], v[106:107]
	s_waitcnt vmcnt(8) lgkmcnt(8)
	v_mul_f64 v[18:19], v[122:123], v[98:99]
	s_waitcnt vmcnt(6) lgkmcnt(6)
	;; [unrolled: 2-line block ×3, first 2 shown]
	v_mul_f64 v[162:163], v[134:135], v[102:103]
	v_mul_f64 v[16:17], v[124:125], v[98:99]
	s_waitcnt vmcnt(3) lgkmcnt(3)
	v_mul_f64 v[169:170], v[144:145], v[78:79]
	s_waitcnt vmcnt(2) lgkmcnt(2)
	;; [unrolled: 2-line block ×3, first 2 shown]
	v_mul_f64 v[179:180], v[150:151], v[90:91]
	v_fma_f64 v[14:15], v[120:121], v[104:105], v[14:15]
	v_mul_f64 v[22:23], v[126:127], v[82:83]
	v_mul_f64 v[158:159], v[130:131], v[74:75]
	;; [unrolled: 1-line block ×7, first 2 shown]
	s_waitcnt vmcnt(0) lgkmcnt(0)
	v_mul_f64 v[181:182], v[156:157], v[94:95]
	v_fma_f64 v[12:13], v[118:119], v[104:105], -v[12:13]
	v_fma_f64 v[18:19], v[124:125], v[96:97], v[18:19]
	v_fma_f64 v[118:119], v[130:131], v[72:73], -v[112:113]
	v_fma_f64 v[124:125], v[136:137], v[100:101], v[162:163]
	v_fma_f64 v[130:131], v[142:143], v[76:77], -v[169:170]
	v_fma_f64 v[136:137], v[146:147], v[68:69], -v[173:174]
	v_fma_f64 v[142:143], v[152:153], v[88:89], v[179:180]
	v_add_f64 v[146:147], v[116:117], v[14:15]
	v_mul_f64 v[20:21], v[128:129], v[82:83]
	v_mul_f64 v[164:165], v[140:141], v[86:87]
	;; [unrolled: 1-line block ×3, first 2 shown]
	v_fma_f64 v[16:17], v[122:123], v[96:97], -v[16:17]
	v_fma_f64 v[22:23], v[128:129], v[80:81], v[22:23]
	v_fma_f64 v[120:121], v[132:133], v[72:73], v[158:159]
	;; [unrolled: 1-line block ×4, first 2 shown]
	v_fma_f64 v[112:113], v[154:155], v[92:93], -v[181:182]
	v_fma_f64 v[140:141], v[150:151], v[88:89], -v[177:178]
	v_add_f64 v[144:145], v[114:115], v[12:13]
	v_add_f64 v[154:155], v[18:19], v[142:143]
	v_add_f64 v[158:159], v[18:19], -v[142:143]
	v_add_f64 v[18:19], v[146:147], v[18:19]
	v_fma_f64 v[20:21], v[126:127], v[80:81], -v[20:21]
	v_fma_f64 v[122:123], v[134:135], v[100:101], -v[160:161]
	v_fma_f64 v[134:135], v[156:157], v[92:93], v[183:184]
	v_add_f64 v[152:153], v[16:17], v[140:141]
	v_add_f64 v[156:157], v[16:17], -v[140:141]
	v_add_f64 v[16:17], v[144:145], v[16:17]
	v_fma_f64 v[126:127], v[138:139], v[84:85], -v[164:165]
	v_add_f64 v[18:19], v[18:19], v[22:23]
	v_fma_f64 v[138:139], v[148:149], v[68:69], v[175:176]
	v_add_f64 v[148:149], v[12:13], v[112:113]
	v_add_f64 v[12:13], v[12:13], -v[112:113]
	v_add_f64 v[150:151], v[14:15], v[134:135]
	v_add_f64 v[14:15], v[14:15], -v[134:135]
	v_add_f64 v[16:17], v[16:17], v[20:21]
	v_mul_f64 v[175:176], v[156:157], s[20:21]
	v_add_f64 v[18:19], v[18:19], v[120:121]
	v_mul_f64 v[173:174], v[158:159], s[20:21]
	v_mul_f64 v[177:178], v[158:159], s[26:27]
	;; [unrolled: 1-line block ×5, first 2 shown]
	v_add_f64 v[16:17], v[16:17], v[118:119]
	v_mul_f64 v[160:161], v[14:15], s[20:21]
	v_add_f64 v[18:19], v[18:19], v[124:125]
	v_mul_f64 v[164:165], v[14:15], s[18:19]
	v_mul_f64 v[166:167], v[12:13], s[18:19]
	;; [unrolled: 1-line block ×5, first 2 shown]
	v_add_f64 v[16:17], v[16:17], v[122:123]
	v_mul_f64 v[12:13], v[12:13], s[34:35]
	v_add_f64 v[18:19], v[18:19], v[128:129]
	v_fma_f64 v[183:184], v[150:151], s[22:23], v[146:147]
	v_fma_f64 v[181:182], v[148:149], s[22:23], -v[144:145]
	v_fma_f64 v[144:145], v[148:149], s[22:23], v[144:145]
	v_fma_f64 v[146:147], v[150:151], s[22:23], -v[146:147]
	v_fma_f64 v[185:186], v[148:149], s[14:15], -v[160:161]
	v_add_f64 v[16:17], v[16:17], v[126:127]
	v_fma_f64 v[187:188], v[150:151], s[14:15], v[162:163]
	v_add_f64 v[18:19], v[18:19], v[132:133]
	v_fma_f64 v[160:161], v[148:149], s[14:15], v[160:161]
	v_fma_f64 v[162:163], v[150:151], s[14:15], -v[162:163]
	v_fma_f64 v[189:190], v[148:149], s[16:17], -v[164:165]
	v_fma_f64 v[191:192], v[150:151], s[16:17], v[166:167]
	v_fma_f64 v[164:165], v[148:149], s[16:17], v[164:165]
	v_add_f64 v[16:17], v[16:17], v[130:131]
	v_fma_f64 v[166:167], v[150:151], s[16:17], -v[166:167]
	v_add_f64 v[18:19], v[18:19], v[138:139]
	v_fma_f64 v[193:194], v[148:149], s[24:25], -v[169:170]
	v_fma_f64 v[195:196], v[150:151], s[24:25], v[171:172]
	v_fma_f64 v[169:170], v[148:149], s[24:25], v[169:170]
	v_fma_f64 v[171:172], v[150:151], s[24:25], -v[171:172]
	v_fma_f64 v[197:198], v[148:149], s[28:29], -v[14:15]
	v_fma_f64 v[199:200], v[150:151], s[28:29], v[12:13]
	v_fma_f64 v[14:15], v[148:149], s[28:29], v[14:15]
	v_fma_f64 v[12:13], v[150:151], s[28:29], -v[12:13]
	v_fma_f64 v[150:151], v[154:155], s[14:15], v[175:176]
	v_add_f64 v[183:184], v[116:117], v[183:184]
	v_add_f64 v[16:17], v[16:17], v[136:137]
	;; [unrolled: 1-line block ×3, first 2 shown]
	v_fma_f64 v[148:149], v[152:153], s[14:15], -v[173:174]
	v_fma_f64 v[173:174], v[152:153], s[14:15], v[173:174]
	v_fma_f64 v[201:202], v[152:153], s[24:25], -v[177:178]
	v_add_f64 v[181:182], v[114:115], v[181:182]
	v_add_f64 v[144:145], v[114:115], v[144:145]
	;; [unrolled: 1-line block ×14, first 2 shown]
	v_mul_f64 v[150:151], v[156:157], s[40:41]
	v_mul_f64 v[179:180], v[156:157], s[26:27]
	v_fma_f64 v[175:176], v[154:155], s[14:15], -v[175:176]
	v_add_f64 v[146:147], v[116:117], v[146:147]
	v_add_f64 v[187:188], v[116:117], v[187:188]
	;; [unrolled: 1-line block ×12, first 2 shown]
	v_mul_f64 v[148:149], v[158:159], s[40:41]
	v_mul_f64 v[173:174], v[158:159], s[38:39]
	v_fma_f64 v[181:182], v[154:155], s[28:29], v[150:151]
	v_fma_f64 v[150:151], v[154:155], s[28:29], -v[150:151]
	v_mul_f64 v[185:186], v[156:157], s[38:39]
	v_add_f64 v[134:135], v[175:176], v[146:147]
	v_fma_f64 v[146:147], v[154:155], s[24:25], v[179:180]
	v_fma_f64 v[175:176], v[152:153], s[24:25], v[177:178]
	v_fma_f64 v[177:178], v[154:155], s[24:25], -v[179:180]
	v_fma_f64 v[179:180], v[152:153], s[28:29], -v[148:149]
	;; [unrolled: 1-line block ×3, first 2 shown]
	v_add_f64 v[150:151], v[150:151], v[166:167]
	v_fma_f64 v[166:167], v[154:155], s[16:17], v[185:186]
	v_fma_f64 v[173:174], v[152:153], s[16:17], v[173:174]
	v_mul_f64 v[158:159], v[158:159], s[36:37]
	v_fma_f64 v[148:149], v[152:153], s[28:29], v[148:149]
	v_add_f64 v[160:161], v[175:176], v[160:161]
	v_add_f64 v[162:163], v[177:178], v[162:163]
	;; [unrolled: 1-line block ×4, first 2 shown]
	v_add_f64 v[179:180], v[22:23], -v[138:139]
	v_mul_f64 v[156:157], v[156:157], s[36:37]
	v_fma_f64 v[181:182], v[154:155], s[16:17], -v[185:186]
	v_add_f64 v[140:141], v[166:167], v[140:141]
	v_add_f64 v[166:167], v[20:21], -v[136:137]
	v_add_f64 v[142:143], v[173:174], v[142:143]
	v_fma_f64 v[173:174], v[152:153], s[22:23], -v[158:159]
	v_add_f64 v[148:149], v[148:149], v[164:165]
	v_add_f64 v[164:165], v[183:184], v[193:194]
	;; [unrolled: 1-line block ×3, first 2 shown]
	v_mul_f64 v[136:137], v[179:180], s[18:19]
	v_fma_f64 v[183:184], v[154:155], s[22:23], v[156:157]
	v_add_f64 v[169:170], v[181:182], v[169:170]
	v_add_f64 v[22:23], v[22:23], v[138:139]
	v_mul_f64 v[138:139], v[166:167], s[18:19]
	v_fma_f64 v[152:153], v[152:153], s[22:23], v[158:159]
	v_fma_f64 v[154:155], v[154:155], s[22:23], -v[156:157]
	v_add_f64 v[158:159], v[173:174], v[171:172]
	v_mul_f64 v[173:174], v[179:180], s[40:41]
	v_mul_f64 v[181:182], v[166:167], s[40:41]
	v_add_f64 v[146:147], v[146:147], v[187:188]
	v_fma_f64 v[156:157], v[20:21], s[16:17], -v[136:137]
	v_add_f64 v[171:172], v[183:184], v[195:196]
	v_fma_f64 v[183:184], v[22:23], s[16:17], v[138:139]
	v_add_f64 v[14:15], v[152:153], v[14:15]
	v_add_f64 v[12:13], v[154:155], v[12:13]
	v_fma_f64 v[136:137], v[20:21], s[16:17], v[136:137]
	v_fma_f64 v[138:139], v[22:23], s[16:17], -v[138:139]
	v_fma_f64 v[152:153], v[20:21], s[28:29], -v[173:174]
	v_fma_f64 v[154:155], v[22:23], s[28:29], v[181:182]
	s_mov_b32 s21, 0x3fed1bb4
	v_add_f64 v[16:17], v[156:157], v[16:17]
	v_mul_f64 v[156:157], v[179:180], s[20:21]
	v_add_f64 v[18:19], v[183:184], v[18:19]
	v_add_f64 v[116:117], v[136:137], v[116:117]
	;; [unrolled: 1-line block ×5, first 2 shown]
	v_fma_f64 v[144:145], v[20:21], s[28:29], v[173:174]
	v_fma_f64 v[146:147], v[22:23], s[28:29], -v[181:182]
	v_mul_f64 v[173:174], v[179:180], s[30:31]
	v_mul_f64 v[181:182], v[166:167], s[30:31]
	;; [unrolled: 1-line block ×3, first 2 shown]
	v_fma_f64 v[152:153], v[20:21], s[14:15], -v[156:157]
	v_fma_f64 v[156:157], v[20:21], s[14:15], v[156:157]
	v_mul_f64 v[166:167], v[166:167], s[26:27]
	v_add_f64 v[144:145], v[144:145], v[160:161]
	v_add_f64 v[146:147], v[146:147], v[162:163]
	v_fma_f64 v[160:161], v[20:21], s[22:23], -v[173:174]
	v_fma_f64 v[162:163], v[22:23], s[22:23], v[181:182]
	v_fma_f64 v[154:155], v[22:23], s[14:15], v[183:184]
	v_fma_f64 v[183:184], v[22:23], s[14:15], -v[183:184]
	v_add_f64 v[148:149], v[156:157], v[148:149]
	v_mul_f64 v[156:157], v[179:180], s[26:27]
	v_add_f64 v[152:153], v[152:153], v[175:176]
	v_fma_f64 v[173:174], v[20:21], s[22:23], v[173:174]
	v_add_f64 v[160:161], v[160:161], v[164:165]
	v_add_f64 v[140:141], v[162:163], v[140:141]
	v_add_f64 v[162:163], v[120:121], -v[132:133]
	v_add_f64 v[164:165], v[118:119], -v[130:131]
	v_add_f64 v[154:155], v[154:155], v[177:178]
	v_fma_f64 v[175:176], v[22:23], s[22:23], -v[181:182]
	v_fma_f64 v[177:178], v[20:21], s[24:25], -v[156:157]
	v_fma_f64 v[179:180], v[22:23], s[24:25], v[166:167]
	v_add_f64 v[118:119], v[118:119], v[130:131]
	v_add_f64 v[120:121], v[120:121], v[132:133]
	v_fma_f64 v[20:21], v[20:21], s[24:25], v[156:157]
	v_mul_f64 v[132:133], v[164:165], s[26:27]
	v_fma_f64 v[22:23], v[22:23], s[24:25], -v[166:167]
	v_mul_f64 v[156:157], v[162:163], s[38:39]
	v_mul_f64 v[166:167], v[164:165], s[38:39]
	v_add_f64 v[169:170], v[175:176], v[169:170]
	v_mul_f64 v[130:131], v[162:163], s[26:27]
	v_add_f64 v[142:143], v[173:174], v[142:143]
	v_add_f64 v[14:15], v[20:21], v[14:15]
	v_fma_f64 v[175:176], v[120:121], s[24:25], v[132:133]
	v_fma_f64 v[132:133], v[120:121], s[24:25], -v[132:133]
	v_add_f64 v[12:13], v[22:23], v[12:13]
	v_fma_f64 v[20:21], v[118:119], s[16:17], -v[156:157]
	v_fma_f64 v[22:23], v[120:121], s[16:17], v[166:167]
	v_fma_f64 v[173:174], v[118:119], s[24:25], -v[130:131]
	v_fma_f64 v[130:131], v[118:119], s[24:25], v[130:131]
	v_add_f64 v[150:151], v[183:184], v[150:151]
	v_add_f64 v[158:159], v[177:178], v[158:159]
	;; [unrolled: 1-line block ×3, first 2 shown]
	v_mul_f64 v[134:135], v[164:165], s[30:31]
	v_add_f64 v[20:21], v[20:21], v[136:137]
	v_add_f64 v[22:23], v[22:23], v[138:139]
	v_mul_f64 v[136:137], v[162:163], s[34:35]
	v_mul_f64 v[138:139], v[164:165], s[34:35]
	v_add_f64 v[171:172], v[179:180], v[171:172]
	v_add_f64 v[18:19], v[175:176], v[18:19]
	;; [unrolled: 1-line block ×3, first 2 shown]
	v_mul_f64 v[116:117], v[162:163], s[30:31]
	v_fma_f64 v[156:157], v[118:119], s[16:17], v[156:157]
	v_fma_f64 v[175:176], v[120:121], s[22:23], v[134:135]
	v_fma_f64 v[134:135], v[120:121], s[22:23], -v[134:135]
	v_fma_f64 v[177:178], v[118:119], s[28:29], -v[136:137]
	v_fma_f64 v[179:180], v[120:121], s[28:29], v[138:139]
	v_add_f64 v[16:17], v[173:174], v[16:17]
	v_fma_f64 v[166:167], v[120:121], s[16:17], -v[166:167]
	v_fma_f64 v[173:174], v[118:119], s[22:23], -v[116:117]
	v_fma_f64 v[116:117], v[118:119], s[22:23], v[116:117]
	v_add_f64 v[144:145], v[156:157], v[144:145]
	v_add_f64 v[150:151], v[134:135], v[150:151]
	;; [unrolled: 1-line block ×4, first 2 shown]
	v_add_f64 v[134:135], v[124:125], -v[128:129]
	v_add_f64 v[140:141], v[122:123], -v[126:127]
	v_add_f64 v[146:147], v[166:167], v[146:147]
	v_add_f64 v[148:149], v[116:117], v[148:149]
	v_mul_f64 v[116:117], v[162:163], s[20:21]
	v_mul_f64 v[162:163], v[164:165], s[20:21]
	v_fma_f64 v[136:137], v[118:119], s[28:29], v[136:137]
	v_add_f64 v[164:165], v[122:123], v[126:127]
	v_add_f64 v[166:167], v[124:125], v[128:129]
	v_mul_f64 v[122:123], v[134:135], s[34:35]
	v_mul_f64 v[124:125], v[140:141], s[34:35]
	v_add_f64 v[152:153], v[173:174], v[152:153]
	v_fma_f64 v[138:139], v[120:121], s[28:29], -v[138:139]
	v_fma_f64 v[126:127], v[118:119], s[14:15], -v[116:117]
	v_fma_f64 v[128:129], v[120:121], s[14:15], v[162:163]
	v_add_f64 v[173:174], v[136:137], v[142:143]
	v_fma_f64 v[116:117], v[118:119], s[14:15], v[116:117]
	v_fma_f64 v[118:119], v[120:121], s[14:15], -v[162:163]
	v_fma_f64 v[120:121], v[164:165], s[28:29], -v[122:123]
	v_fma_f64 v[136:137], v[166:167], s[28:29], v[124:125]
	v_add_f64 v[169:170], v[138:139], v[169:170]
	v_add_f64 v[158:159], v[126:127], v[158:159]
	;; [unrolled: 1-line block ×3, first 2 shown]
	v_mul_f64 v[126:127], v[134:135], s[36:37]
	v_mul_f64 v[128:129], v[140:141], s[36:37]
	v_add_f64 v[14:15], v[116:117], v[14:15]
	v_add_f64 v[12:13], v[118:119], v[12:13]
	;; [unrolled: 1-line block ×4, first 2 shown]
	v_fma_f64 v[16:17], v[164:165], s[28:29], v[122:123]
	v_mul_f64 v[136:137], v[134:135], s[26:27]
	v_fma_f64 v[18:19], v[166:167], s[28:29], -v[124:125]
	v_fma_f64 v[120:121], v[164:165], s[22:23], -v[126:127]
	v_fma_f64 v[122:123], v[166:167], s[22:23], v[128:129]
	v_fma_f64 v[138:139], v[164:165], s[22:23], v[126:127]
	v_fma_f64 v[142:143], v[166:167], s[22:23], -v[128:129]
	v_mul_f64 v[171:172], v[140:141], s[26:27]
	v_add_f64 v[124:125], v[16:17], v[130:131]
	v_fma_f64 v[16:17], v[164:165], s[24:25], -v[136:137]
	v_add_f64 v[154:155], v[175:176], v[154:155]
	v_add_f64 v[126:127], v[18:19], v[132:133]
	v_add_f64 v[120:121], v[120:121], v[20:21]
	v_add_f64 v[122:123], v[122:123], v[22:23]
	v_add_f64 v[128:129], v[138:139], v[144:145]
	v_add_f64 v[130:131], v[142:143], v[146:147]
	v_fma_f64 v[18:19], v[166:167], s[24:25], v[171:172]
	v_fma_f64 v[20:21], v[164:165], s[24:25], v[136:137]
	v_fma_f64 v[22:23], v[166:167], s[24:25], -v[171:172]
	v_mul_f64 v[142:143], v[134:135], s[20:21]
	v_mul_f64 v[144:145], v[140:141], s[20:21]
	v_add_f64 v[132:133], v[16:17], v[152:153]
	v_mul_f64 v[16:17], v[134:135], s[18:19]
	v_mul_f64 v[140:141], v[140:141], s[18:19]
	v_add_f64 v[134:135], v[18:19], v[154:155]
	v_add_f64 v[136:137], v[20:21], v[148:149]
	;; [unrolled: 1-line block ×3, first 2 shown]
	v_fma_f64 v[18:19], v[164:165], s[14:15], -v[142:143]
	v_fma_f64 v[20:21], v[166:167], s[14:15], v[144:145]
	v_fma_f64 v[22:23], v[164:165], s[14:15], v[142:143]
	v_fma_f64 v[146:147], v[164:165], s[16:17], -v[16:17]
	v_fma_f64 v[150:151], v[166:167], s[16:17], v[140:141]
	v_fma_f64 v[16:17], v[164:165], s[16:17], v[16:17]
	v_fma_f64 v[154:155], v[166:167], s[16:17], -v[140:141]
	v_fma_f64 v[164:165], v[166:167], s[14:15], -v[144:145]
	v_add_f64 v[140:141], v[18:19], v[156:157]
	v_add_f64 v[142:143], v[20:21], v[160:161]
	;; [unrolled: 1-line block ×8, first 2 shown]
	ds_write_b128 v255, v[112:115]
	ds_write_b128 v255, v[116:119] offset:2496
	ds_write_b128 v255, v[120:123] offset:4992
	;; [unrolled: 1-line block ×10, first 2 shown]
	s_waitcnt lgkmcnt(0)
	s_barrier
	s_and_saveexec_b64 s[14:15], s[0:1]
	s_cbranch_execz .LBB0_17
; %bb.16:
	v_add_co_u32_e32 v156, vcc, s12, v255
	v_mov_b32_e32 v0, s13
	v_addc_co_u32_e32 v157, vcc, 0, v0, vcc
	v_add_co_u32_e32 v12, vcc, 0x6b40, v156
	v_addc_co_u32_e32 v13, vcc, 0, v157, vcc
	v_add_co_u32_e32 v14, vcc, 0x6000, v156
	v_addc_co_u32_e32 v15, vcc, 0, v157, vcc
	global_load_dwordx4 v[162:165], v[14:15], off offset:2880
	ds_read_b128 v[158:161], v255
	s_movk_i32 s16, 0x7000
	s_waitcnt vmcnt(0) lgkmcnt(0)
	v_mul_f64 v[14:15], v[160:161], v[164:165]
	v_fma_f64 v[169:170], v[158:159], v[162:163], -v[14:15]
	v_mul_f64 v[14:15], v[158:159], v[164:165]
	v_fma_f64 v[171:172], v[160:161], v[162:163], v[14:15]
	global_load_dwordx4 v[162:165], v[12:13], off offset:2112
	ds_read_b128 v[158:161], v255 offset:2112
	ds_write_b128 v255, v[169:172]
	s_waitcnt vmcnt(0) lgkmcnt(1)
	v_mul_f64 v[12:13], v[160:161], v[164:165]
	v_fma_f64 v[169:170], v[158:159], v[162:163], -v[12:13]
	v_mul_f64 v[12:13], v[158:159], v[164:165]
	v_fma_f64 v[171:172], v[160:161], v[162:163], v[12:13]
	v_add_co_u32_e32 v12, vcc, s16, v156
	v_addc_co_u32_e32 v13, vcc, 0, v157, vcc
	global_load_dwordx4 v[162:165], v[12:13], off offset:3008
	ds_read_b128 v[158:161], v255 offset:4224
	s_mov_b32 s16, 0x8000
	ds_write_b128 v255, v[169:172] offset:2112
	s_waitcnt vmcnt(0) lgkmcnt(1)
	v_mul_f64 v[12:13], v[160:161], v[164:165]
	v_fma_f64 v[169:170], v[158:159], v[162:163], -v[12:13]
	v_mul_f64 v[12:13], v[158:159], v[164:165]
	v_fma_f64 v[171:172], v[160:161], v[162:163], v[12:13]
	v_add_co_u32_e32 v12, vcc, s16, v156
	v_addc_co_u32_e32 v13, vcc, 0, v157, vcc
	global_load_dwordx4 v[162:165], v[12:13], off offset:1024
	ds_read_b128 v[158:161], v255 offset:6336
	s_mov_b32 s16, 0x9000
	ds_write_b128 v255, v[169:172] offset:4224
	s_waitcnt vmcnt(0) lgkmcnt(1)
	v_mul_f64 v[14:15], v[160:161], v[164:165]
	v_fma_f64 v[169:170], v[158:159], v[162:163], -v[14:15]
	v_mul_f64 v[14:15], v[158:159], v[164:165]
	v_fma_f64 v[171:172], v[160:161], v[162:163], v[14:15]
	global_load_dwordx4 v[162:165], v[12:13], off offset:3136
	ds_read_b128 v[158:161], v255 offset:8448
	ds_write_b128 v255, v[169:172] offset:6336
	s_waitcnt vmcnt(0) lgkmcnt(1)
	v_mul_f64 v[12:13], v[160:161], v[164:165]
	v_fma_f64 v[169:170], v[158:159], v[162:163], -v[12:13]
	v_mul_f64 v[12:13], v[158:159], v[164:165]
	v_fma_f64 v[171:172], v[160:161], v[162:163], v[12:13]
	v_add_co_u32_e32 v12, vcc, s16, v156
	v_addc_co_u32_e32 v13, vcc, 0, v157, vcc
	global_load_dwordx4 v[162:165], v[12:13], off offset:1152
	ds_read_b128 v[158:161], v255 offset:10560
	s_mov_b32 s16, 0xa000
	ds_write_b128 v255, v[169:172] offset:8448
	s_waitcnt vmcnt(0) lgkmcnt(1)
	v_mul_f64 v[14:15], v[160:161], v[164:165]
	v_fma_f64 v[169:170], v[158:159], v[162:163], -v[14:15]
	v_mul_f64 v[14:15], v[158:159], v[164:165]
	v_fma_f64 v[171:172], v[160:161], v[162:163], v[14:15]
	global_load_dwordx4 v[162:165], v[12:13], off offset:3264
	ds_read_b128 v[158:161], v255 offset:12672
	;; [unrolled: 19-line block ×4, first 2 shown]
	ds_write_b128 v255, v[169:172] offset:19008
	s_waitcnt vmcnt(0) lgkmcnt(1)
	v_mul_f64 v[12:13], v[160:161], v[164:165]
	v_fma_f64 v[169:170], v[158:159], v[162:163], -v[12:13]
	v_mul_f64 v[12:13], v[158:159], v[164:165]
	v_fma_f64 v[171:172], v[160:161], v[162:163], v[12:13]
	v_add_co_u32_e32 v12, vcc, s16, v156
	v_addc_co_u32_e32 v13, vcc, 0, v157, vcc
	global_load_dwordx4 v[162:165], v[12:13], off offset:1536
	ds_read_b128 v[158:161], v255 offset:23232
	ds_write_b128 v255, v[169:172] offset:21120
	s_waitcnt vmcnt(0) lgkmcnt(1)
	v_mul_f64 v[14:15], v[160:161], v[164:165]
	v_fma_f64 v[156:157], v[158:159], v[162:163], -v[14:15]
	v_mul_f64 v[14:15], v[158:159], v[164:165]
	v_fma_f64 v[158:159], v[160:161], v[162:163], v[14:15]
	global_load_dwordx4 v[160:163], v[12:13], off offset:3648
	ds_write_b128 v255, v[156:159] offset:23232
	ds_read_b128 v[156:159], v255 offset:25344
	s_waitcnt vmcnt(0) lgkmcnt(0)
	v_mul_f64 v[12:13], v[158:159], v[162:163]
	v_fma_f64 v[164:165], v[156:157], v[160:161], -v[12:13]
	v_mul_f64 v[12:13], v[156:157], v[162:163]
	v_fma_f64 v[166:167], v[158:159], v[160:161], v[12:13]
	ds_write_b128 v255, v[164:167] offset:25344
.LBB0_17:
	s_or_b64 exec, exec, s[14:15]
	s_waitcnt lgkmcnt(0)
	s_barrier
	s_and_saveexec_b64 s[14:15], s[0:1]
	s_cbranch_execz .LBB0_19
; %bb.18:
	ds_read_b128 v[112:115], v255
	ds_read_b128 v[116:119], v255 offset:2112
	ds_read_b128 v[120:123], v255 offset:4224
	;; [unrolled: 1-line block ×12, first 2 shown]
.LBB0_19:
	s_or_b64 exec, exec, s[14:15]
	s_waitcnt lgkmcnt(0)
	v_add_f64 v[171:172], v[118:119], v[221:222]
	s_mov_b32 s14, 0x1ea71119
	s_mov_b32 s15, 0x3fe22d96
	v_add_f64 v[0:1], v[118:119], -v[221:222]
	s_mov_b32 s16, 0x42a4c3d2
	s_mov_b32 s17, 0xbfea55e2
	v_add_f64 v[169:170], v[116:117], v[219:220]
	v_add_f64 v[22:23], v[122:123], -v[110:111]
	v_mul_f64 v[4:5], v[171:172], s[14:15]
	s_mov_b32 s26, 0x2ef20147
	s_mov_b32 s27, 0xbfedeba7
	v_mul_f64 v[2:3], v[0:1], s[16:17]
	v_add_f64 v[179:180], v[116:117], -v[219:220]
	v_add_f64 v[175:176], v[120:121], v[108:109]
	v_add_f64 v[177:178], v[122:123], v[110:111]
	v_mul_f64 v[6:7], v[22:23], s[26:27]
	buffer_store_dword v4, off, s[52:55], 0 offset:112 ; 4-byte Folded Spill
	s_nop 0
	buffer_store_dword v5, off, s[52:55], 0 offset:116 ; 4-byte Folded Spill
	s_mov_b32 s20, 0x66966769
	s_mov_b32 s22, 0xb2365da1
	v_fma_f64 v[12:13], v[169:170], s[14:15], -v[2:3]
	s_mov_b32 s21, 0xbfefc445
	s_mov_b32 s23, 0xbfd6b1d8
	v_mul_f64 v[10:11], v[0:1], s[20:21]
	v_add_f64 v[189:190], v[120:121], -v[108:109]
	v_mul_f64 v[37:38], v[177:178], s[22:23]
	v_fma_f64 v[20:21], v[175:176], s[22:23], -v[6:7]
	s_mov_b32 s18, 0xebaa3ed8
	v_add_f64 v[12:13], v[112:113], v[12:13]
	s_mov_b32 s28, 0x4bc48dbf
	s_mov_b32 s19, 0x3fbedb7d
	;; [unrolled: 1-line block ×3, first 2 shown]
	v_mul_f64 v[173:174], v[171:172], s[18:19]
	v_fma_f64 v[16:17], v[169:170], s[18:19], -v[10:11]
	v_mul_f64 v[43:44], v[22:23], s[28:29]
	s_mov_b32 s24, 0x93053d00
	v_add_f64 v[12:13], v[20:21], v[12:13]
	v_fma_f64 v[20:21], v[189:190], s[26:27], v[37:38]
	s_mov_b32 s25, 0xbfef11f4
	v_mul_f64 v[181:182], v[177:178], s[24:25]
	v_fma_f64 v[18:19], v[179:180], s[20:21], v[173:174]
	v_add_f64 v[16:17], v[112:113], v[16:17]
	v_add_f64 v[193:194], v[134:135], -v[126:127]
	v_add_f64 v[183:184], v[132:133], v[124:125]
	v_add_f64 v[185:186], v[134:135], v[126:127]
	v_add_f64 v[191:192], v[132:133], -v[124:125]
	s_mov_b32 s44, s26
	v_add_f64 v[209:210], v[142:143], -v[130:131]
	v_add_f64 v[18:19], v[114:115], v[18:19]
	s_mov_b32 s42, 0x24c2f84
	v_mul_f64 v[8:9], v[193:194], s[28:29]
	v_mul_f64 v[49:50], v[193:194], s[44:45]
	;; [unrolled: 1-line block ×4, first 2 shown]
	s_mov_b32 s43, 0x3fe5384d
	v_add_f64 v[197:198], v[140:141], v[128:129]
	v_add_f64 v[199:200], v[142:143], v[130:131]
	v_mul_f64 v[39:40], v[209:210], s[42:43]
	s_mov_b32 s30, 0xd0032e0c
	s_mov_b32 s31, 0xbfe7f3cc
	v_add_f64 v[211:212], v[140:141], -v[128:129]
	s_mov_b32 s37, 0x3fddbe06
	s_mov_b32 s36, 0x4267c47c
	v_mul_f64 v[201:202], v[209:210], s[36:37]
	v_mul_f64 v[45:46], v[199:200], s[30:31]
	s_mov_b32 s34, 0xe00740e9
	s_mov_b32 s35, 0x3fec55a7
	v_mul_f64 v[203:204], v[199:200], s[34:35]
	v_add_f64 v[233:234], v[146:147], -v[138:139]
	s_mov_b32 s47, 0x3fefc445
	s_mov_b32 s46, s20
	v_add_f64 v[215:216], v[144:145], v[136:137]
	v_add_f64 v[217:218], v[146:147], v[138:139]
	v_add_f64 v[225:226], v[144:145], -v[136:137]
	v_add_f64 v[231:232], v[154:155], v[150:151]
	v_add_f64 v[245:246], v[154:155], -v[150:151]
	v_mul_f64 v[47:48], v[233:234], s[46:47]
	v_add_f64 v[227:228], v[152:153], v[148:149]
	v_add_f64 v[239:240], v[152:153], -v[148:149]
	s_mov_b32 s41, 0xbfe5384d
	v_mul_f64 v[187:188], v[217:218], s[18:19]
	v_mul_f64 v[195:196], v[217:218], s[14:15]
	;; [unrolled: 1-line block ×4, first 2 shown]
	s_mov_b32 s40, s42
	v_mul_f64 v[205:206], v[231:232], s[30:31]
	v_fma_f64 v[14:15], v[179:180], s[16:17], v[4:5]
	v_add_f64 v[14:15], v[114:115], v[14:15]
	v_add_f64 v[14:15], v[20:21], v[14:15]
	v_fma_f64 v[20:21], v[175:176], s[24:25], -v[43:44]
	v_add_f64 v[16:17], v[20:21], v[16:17]
	v_fma_f64 v[20:21], v[189:190], s[28:29], v[181:182]
	v_add_f64 v[18:19], v[20:21], v[18:19]
	v_fma_f64 v[20:21], v[183:184], s[24:25], -v[8:9]
	v_add_f64 v[12:13], v[20:21], v[12:13]
	v_fma_f64 v[20:21], v[191:192], s[28:29], v[41:42]
	;; [unrolled: 4-line block ×6, first 2 shown]
	v_add_f64 v[14:15], v[20:21], v[14:15]
	v_mul_f64 v[20:21], v[233:234], s[16:17]
	buffer_store_dword v20, off, s[52:55], 0 offset:96 ; 4-byte Folded Spill
	s_nop 0
	buffer_store_dword v21, off, s[52:55], 0 offset:100 ; 4-byte Folded Spill
	buffer_store_dword v156, off, s[52:55], 0 offset:104 ; 4-byte Folded Spill
	s_nop 0
	buffer_store_dword v157, off, s[52:55], 0 offset:108 ; 4-byte Folded Spill
	s_waitcnt vmcnt(0)
	s_barrier
	v_fma_f64 v[20:21], v[215:216], s[14:15], -v[20:21]
	v_add_f64 v[16:17], v[20:21], v[16:17]
	v_fma_f64 v[20:21], v[225:226], s[16:17], v[195:196]
	v_add_f64 v[18:19], v[20:21], v[18:19]
	v_fma_f64 v[20:21], v[227:228], s[34:35], -v[166:167]
	v_add_f64 v[160:161], v[20:21], v[12:13]
	v_fma_f64 v[12:13], v[239:240], s[36:37], v[156:157]
	v_add_f64 v[162:163], v[12:13], v[14:15]
	v_mul_f64 v[14:15], v[245:246], s[40:41]
	v_fma_f64 v[12:13], v[227:228], s[30:31], -v[14:15]
	v_add_f64 v[156:157], v[12:13], v[16:17]
	v_fma_f64 v[12:13], v[239:240], s[40:41], v[205:206]
	v_add_f64 v[158:159], v[12:13], v[18:19]
	s_and_saveexec_b64 s[38:39], s[0:1]
	s_cbranch_execz .LBB0_21
; %bb.20:
	v_mul_f64 v[12:13], v[169:170], s[14:15]
	v_mul_f64 v[4:5], v[179:180], s[20:21]
	;; [unrolled: 1-line block ×4, first 2 shown]
	v_add_f64 v[116:117], v[112:113], v[116:117]
	v_add_f64 v[118:119], v[114:115], v[118:119]
	buffer_store_dword v12, off, s[52:55], 0 offset:240 ; 4-byte Folded Spill
	s_nop 0
	buffer_store_dword v13, off, s[52:55], 0 offset:244 ; 4-byte Folded Spill
	v_mul_f64 v[12:13], v[179:180], s[16:17]
	buffer_store_dword v12, off, s[52:55], 0 offset:272 ; 4-byte Folded Spill
	s_nop 0
	buffer_store_dword v13, off, s[52:55], 0 offset:276 ; 4-byte Folded Spill
	v_mul_f64 v[12:13], v[169:170], s[18:19]
	v_add_f64 v[116:117], v[116:117], v[120:121]
	v_add_f64 v[118:119], v[118:119], v[122:123]
	v_mul_f64 v[122:123], v[211:212], s[26:27]
	buffer_store_dword v12, off, s[52:55], 0 offset:296 ; 4-byte Folded Spill
	s_nop 0
	buffer_store_dword v13, off, s[52:55], 0 offset:300 ; 4-byte Folded Spill
	v_mul_f64 v[12:13], v[175:176], s[22:23]
	buffer_store_dword v4, off, s[52:55], 0 offset:328 ; 4-byte Folded Spill
	s_nop 0
	buffer_store_dword v5, off, s[52:55], 0 offset:332 ; 4-byte Folded Spill
	v_mul_f64 v[4:5], v[175:176], s[24:25]
	v_add_f64 v[116:117], v[116:117], v[132:133]
	v_add_f64 v[118:119], v[118:119], v[134:135]
	v_fma_f64 v[134:135], v[199:200], s[22:23], v[122:123]
	v_fma_f64 v[122:123], v[199:200], s[22:23], -v[122:123]
	buffer_store_dword v12, off, s[52:55], 0 offset:216 ; 4-byte Folded Spill
	s_nop 0
	buffer_store_dword v13, off, s[52:55], 0 offset:220 ; 4-byte Folded Spill
	v_mul_f64 v[12:13], v[189:190], s[26:27]
	buffer_store_dword v12, off, s[52:55], 0 offset:264 ; 4-byte Folded Spill
	s_nop 0
	buffer_store_dword v13, off, s[52:55], 0 offset:268 ; 4-byte Folded Spill
	buffer_store_dword v4, off, s[52:55], 0 offset:320 ; 4-byte Folded Spill
	s_nop 0
	buffer_store_dword v5, off, s[52:55], 0 offset:324 ; 4-byte Folded Spill
	v_mul_f64 v[4:5], v[189:190], s[28:29]
	v_mul_f64 v[12:13], v[179:180], s[28:29]
	v_add_f64 v[140:141], v[116:117], v[140:141]
	v_add_f64 v[118:119], v[118:119], v[142:143]
	v_mul_f64 v[142:143], v[245:246], s[28:29]
	buffer_store_dword v4, off, s[52:55], 0 offset:352 ; 4-byte Folded Spill
	s_nop 0
	buffer_store_dword v5, off, s[52:55], 0 offset:356 ; 4-byte Folded Spill
	buffer_store_dword v14, off, s[52:55], 0 offset:288 ; 4-byte Folded Spill
	s_nop 0
	buffer_store_dword v15, off, s[52:55], 0 offset:292 ; 4-byte Folded Spill
	v_mul_f64 v[14:15], v[183:184], s[24:25]
	v_mul_f64 v[4:5], v[183:184], s[22:23]
	v_fma_f64 v[18:19], v[171:172], s[24:25], v[12:13]
	v_fma_f64 v[12:13], v[171:172], s[24:25], -v[12:13]
	v_add_f64 v[118:119], v[118:119], v[146:147]
	v_mul_f64 v[146:147], v[209:210], s[26:27]
	buffer_store_dword v14, off, s[52:55], 0 offset:192 ; 4-byte Folded Spill
	s_nop 0
	buffer_store_dword v15, off, s[52:55], 0 offset:196 ; 4-byte Folded Spill
	v_mul_f64 v[14:15], v[191:192], s[28:29]
	v_add_f64 v[18:19], v[114:115], v[18:19]
	v_add_f64 v[12:13], v[114:115], v[12:13]
	;; [unrolled: 1-line block ×3, first 2 shown]
	buffer_store_dword v14, off, s[52:55], 0 offset:256 ; 4-byte Folded Spill
	s_nop 0
	buffer_store_dword v15, off, s[52:55], 0 offset:260 ; 4-byte Folded Spill
	buffer_store_dword v4, off, s[52:55], 0 offset:344 ; 4-byte Folded Spill
	s_nop 0
	buffer_store_dword v5, off, s[52:55], 0 offset:348 ; 4-byte Folded Spill
	v_mul_f64 v[4:5], v[191:192], s[44:45]
	v_mul_f64 v[14:15], v[0:1], s[28:29]
	s_mov_b32 s45, 0x3fea55e2
	s_mov_b32 s44, s16
	v_add_f64 v[118:119], v[118:119], v[150:151]
	buffer_store_dword v4, off, s[52:55], 0 offset:368 ; 4-byte Folded Spill
	s_nop 0
	buffer_store_dword v5, off, s[52:55], 0 offset:372 ; 4-byte Folded Spill
	buffer_store_dword v20, off, s[52:55], 0 offset:208 ; 4-byte Folded Spill
	s_nop 0
	buffer_store_dword v21, off, s[52:55], 0 offset:212 ; 4-byte Folded Spill
	v_mul_f64 v[20:21], v[211:212], s[42:43]
	v_mul_f64 v[4:5], v[197:198], s[34:35]
	v_add_f64 v[118:119], v[118:119], v[138:139]
	buffer_store_dword v20, off, s[52:55], 0 offset:280 ; 4-byte Folded Spill
	s_nop 0
	buffer_store_dword v21, off, s[52:55], 0 offset:284 ; 4-byte Folded Spill
	buffer_store_dword v24, off, s[52:55], 0 offset:128 ; 4-byte Folded Spill
	s_nop 0
	buffer_store_dword v25, off, s[52:55], 0 offset:132 ; 4-byte Folded Spill
	buffer_store_dword v26, off, s[52:55], 0 offset:136 ; 4-byte Folded Spill
	;; [unrolled: 1-line block ×4, first 2 shown]
	s_nop 0
	buffer_store_dword v29, off, s[52:55], 0 offset:148 ; 4-byte Folded Spill
	buffer_store_dword v30, off, s[52:55], 0 offset:152 ; 4-byte Folded Spill
	;; [unrolled: 1-line block ×3, first 2 shown]
	v_mov_b32_e32 v26, v219
	v_mov_b32_e32 v20, v164
	;; [unrolled: 1-line block ×5, first 2 shown]
	v_mul_f64 v[219:220], v[22:23], s[36:37]
	v_mov_b32_e32 v21, v165
	v_fma_f64 v[164:165], v[169:170], s[24:25], -v[14:15]
	buffer_store_dword v166, off, s[52:55], 0 offset:200 ; 4-byte Folded Spill
	s_nop 0
	buffer_store_dword v167, off, s[52:55], 0 offset:204 ; 4-byte Folded Spill
	v_mul_f64 v[166:167], v[191:192], s[40:41]
	v_fma_f64 v[221:222], v[177:178], s[34:35], v[16:17]
	v_mov_b32_e32 v24, v207
	v_mov_b32_e32 v25, v208
	v_mul_f64 v[207:208], v[193:194], s[40:41]
	buffer_store_dword v213, off, s[52:55], 0 offset:160 ; 4-byte Folded Spill
	buffer_store_dword v214, off, s[52:55], 0 offset:164 ; 4-byte Folded Spill
	v_fma_f64 v[213:214], v[175:176], s[34:35], -v[219:220]
	v_add_f64 v[164:165], v[112:113], v[164:165]
	v_mov_b32_e32 v31, v23
	buffer_store_dword v223, off, s[52:55], 0 offset:120 ; 4-byte Folded Spill
	buffer_store_dword v224, off, s[52:55], 0 offset:124 ; 4-byte Folded Spill
	;; [unrolled: 1-line block ×4, first 2 shown]
	v_fma_f64 v[229:230], v[185:186], s[30:31], v[166:167]
	v_add_f64 v[18:19], v[221:222], v[18:19]
	v_mul_f64 v[221:222], v[209:210], s[44:45]
	v_mov_b32_e32 v30, v22
	v_fma_f64 v[22:23], v[183:184], s[30:31], -v[207:208]
	v_add_f64 v[164:165], v[213:214], v[164:165]
	v_mul_f64 v[223:224], v[211:212], s[44:45]
	buffer_store_dword v4, off, s[52:55], 0 offset:360 ; 4-byte Folded Spill
	s_nop 0
	buffer_store_dword v5, off, s[52:55], 0 offset:364 ; 4-byte Folded Spill
	buffer_store_dword v39, off, s[52:55], 0 offset:224 ; 4-byte Folded Spill
	s_nop 0
	buffer_store_dword v40, off, s[52:55], 0 offset:228 ; 4-byte Folded Spill
	;; [unrolled: 3-line block ×3, first 2 shown]
	v_add_f64 v[18:19], v[229:230], v[18:19]
	buffer_store_dword v43, off, s[52:55], 0 offset:376 ; 4-byte Folded Spill
	s_nop 0
	buffer_store_dword v44, off, s[52:55], 0 offset:380 ; 4-byte Folded Spill
	v_fma_f64 v[229:230], v[197:198], s[14:15], -v[221:222]
	v_fma_f64 v[16:17], v[177:178], s[34:35], -v[16:17]
	v_add_f64 v[22:23], v[22:23], v[164:165]
	v_mul_f64 v[213:214], v[225:226], s[26:27]
	v_fma_f64 v[40:41], v[199:200], s[14:15], v[223:224]
	v_mul_f64 v[42:43], v[233:234], s[26:27]
	v_mul_f64 v[4:5], v[211:212], s[36:37]
	buffer_store_dword v45, off, s[52:55], 0 offset:312 ; 4-byte Folded Spill
	s_nop 0
	buffer_store_dword v46, off, s[52:55], 0 offset:316 ; 4-byte Folded Spill
	buffer_store_dword v47, off, s[52:55], 0 offset:232 ; 4-byte Folded Spill
	s_nop 0
	buffer_store_dword v48, off, s[52:55], 0 offset:236 ; 4-byte Folded Spill
	v_add_f64 v[12:13], v[16:17], v[12:13]
	v_add_f64 v[16:17], v[229:230], v[22:23]
	v_mul_f64 v[22:23], v[215:216], s[18:19]
	v_mul_f64 v[44:45], v[239:240], s[46:47]
	v_fma_f64 v[46:47], v[217:218], s[22:23], v[213:214]
	v_add_f64 v[18:19], v[40:41], v[18:19]
	v_mul_f64 v[40:41], v[245:246], s[46:47]
	v_fma_f64 v[164:165], v[215:216], s[22:23], -v[42:43]
	buffer_store_dword v4, off, s[52:55], 0 offset:392 ; 4-byte Folded Spill
	s_nop 0
	buffer_store_dword v5, off, s[52:55], 0 offset:396 ; 4-byte Folded Spill
	buffer_store_dword v22, off, s[52:55], 0 offset:248 ; 4-byte Folded Spill
	s_nop 0
	buffer_store_dword v23, off, s[52:55], 0 offset:252 ; 4-byte Folded Spill
	v_mul_f64 v[4:5], v[225:226], s[46:47]
	v_fma_f64 v[166:167], v[185:186], s[30:31], -v[166:167]
	v_fma_f64 v[22:23], v[231:232], s[18:19], v[44:45]
	v_add_f64 v[18:19], v[46:47], v[18:19]
	v_fma_f64 v[46:47], v[227:228], s[18:19], -v[40:41]
	v_add_f64 v[16:17], v[164:165], v[16:17]
	buffer_store_dword v4, off, s[52:55], 0 offset:336 ; 4-byte Folded Spill
	s_nop 0
	buffer_store_dword v5, off, s[52:55], 0 offset:340 ; 4-byte Folded Spill
	v_add_f64 v[12:13], v[166:167], v[12:13]
	v_mul_f64 v[4:5], v[215:216], s[14:15]
	v_add_f64 v[166:167], v[22:23], v[18:19]
	buffer_store_dword v4, off, s[52:55], 0 offset:384 ; 4-byte Folded Spill
	s_nop 0
	buffer_store_dword v5, off, s[52:55], 0 offset:388 ; 4-byte Folded Spill
	v_add_f64 v[164:165], v[46:47], v[16:17]
	buffer_store_dword v164, off, s[52:55], 0 offset:176 ; 4-byte Folded Spill
	s_nop 0
	buffer_store_dword v165, off, s[52:55], 0 offset:180 ; 4-byte Folded Spill
	buffer_store_dword v166, off, s[52:55], 0 offset:184 ; 4-byte Folded Spill
	;; [unrolled: 1-line block ×4, first 2 shown]
	s_nop 0
	buffer_store_dword v31, off, s[52:55], 0 offset:412 ; 4-byte Folded Spill
	v_mov_b32_e32 v5, v1
	v_mov_b32_e32 v4, v0
	buffer_store_dword v201, off, s[52:55], 0 offset:432 ; 4-byte Folded Spill
	s_nop 0
	buffer_store_dword v202, off, s[52:55], 0 offset:436 ; 4-byte Folded Spill
	buffer_store_dword v37, off, s[52:55], 0 offset:424 ; 4-byte Folded Spill
	s_nop 0
	buffer_store_dword v38, off, s[52:55], 0 offset:428 ; 4-byte Folded Spill
	;; [unrolled: 3-line block ×4, first 2 shown]
	v_mov_b32_e32 v230, v204
	v_fma_f64 v[223:224], v[199:200], s[14:15], -v[223:224]
	v_fma_f64 v[14:15], v[169:170], s[24:25], v[14:15]
	v_mul_f64 v[22:23], v[179:180], s[40:41]
	v_mov_b32_e32 v229, v203
	v_mov_b32_e32 v204, v107
	;; [unrolled: 1-line block ×30, first 2 shown]
	v_fma_f64 v[18:19], v[217:218], s[22:23], -v[213:214]
	v_add_f64 v[12:13], v[223:224], v[12:13]
	v_fma_f64 v[16:17], v[175:176], s[34:35], v[219:220]
	v_mul_f64 v[46:47], v[0:1], s[40:41]
	v_add_f64 v[14:15], v[112:113], v[14:15]
	v_mul_f64 v[213:214], v[189:190], s[46:47]
	v_fma_f64 v[219:220], v[171:172], s[30:31], v[22:23]
	v_mov_b32_e32 v82, v78
	v_mov_b32_e32 v81, v77
	;; [unrolled: 1-line block ×4, first 2 shown]
	v_fma_f64 v[22:23], v[171:172], s[30:31], -v[22:23]
	v_mov_b32_e32 v78, v74
	v_mov_b32_e32 v77, v73
	;; [unrolled: 1-line block ×28, first 2 shown]
	v_add_f64 v[12:13], v[18:19], v[12:13]
	v_fma_f64 v[18:19], v[183:184], s[30:31], v[207:208]
	v_mul_f64 v[207:208], v[30:31], s[46:47]
	v_fma_f64 v[223:224], v[169:170], s[30:31], -v[46:47]
	v_add_f64 v[14:15], v[16:17], v[14:15]
	v_mul_f64 v[16:17], v[191:192], s[16:17]
	v_mov_b32_e32 v33, v236
	v_mov_b32_e32 v34, v237
	;; [unrolled: 1-line block ×3, first 2 shown]
	v_fma_f64 v[235:236], v[177:178], s[18:19], v[213:214]
	v_fma_f64 v[213:214], v[177:178], s[18:19], -v[213:214]
	v_add_f64 v[22:23], v[114:115], v[22:23]
	v_mov_b32_e32 v36, v241
	v_mov_b32_e32 v48, v247
	v_add_f64 v[219:220], v[114:115], v[219:220]
	v_mul_f64 v[237:238], v[193:194], s[16:17]
	v_mov_b32_e32 v37, v242
	v_mov_b32_e32 v38, v243
	;; [unrolled: 1-line block ×3, first 2 shown]
	v_fma_f64 v[241:242], v[175:176], s[18:19], -v[207:208]
	v_add_f64 v[223:224], v[112:113], v[223:224]
	v_mov_b32_e32 v49, v248
	v_mov_b32_e32 v50, v249
	;; [unrolled: 1-line block ×3, first 2 shown]
	v_fma_f64 v[247:248], v[185:186], s[14:15], v[16:17]
	v_fma_f64 v[16:17], v[185:186], s[14:15], -v[16:17]
	v_add_f64 v[22:23], v[213:214], v[22:23]
	s_mov_b32 s47, 0x3fcea1e5
	s_mov_b32 s46, s28
	buffer_store_dword v2, off, s[52:55], 0 offset:416 ; 4-byte Folded Spill
	s_nop 0
	buffer_store_dword v3, off, s[52:55], 0 offset:420 ; 4-byte Folded Spill
	v_mul_f64 v[243:244], v[211:212], s[46:47]
	v_add_f64 v[219:220], v[235:236], v[219:220]
	v_mul_f64 v[235:236], v[209:210], s[46:47]
	v_fma_f64 v[0:1], v[183:184], s[14:15], -v[237:238]
	v_add_f64 v[2:3], v[241:242], v[223:224]
	v_add_f64 v[16:17], v[16:17], v[22:23]
	v_mul_f64 v[22:23], v[4:5], s[26:27]
	buffer_load_dword v4, off, s[52:55], 0 offset:328 ; 4-byte Folded Reload
	buffer_load_dword v5, off, s[52:55], 0 offset:332 ; 4-byte Folded Reload
	v_fma_f64 v[221:222], v[197:198], s[14:15], v[221:222]
	v_add_f64 v[14:15], v[18:19], v[14:15]
	v_fma_f64 v[223:224], v[199:200], s[24:25], v[243:244]
	v_add_f64 v[219:220], v[247:248], v[219:220]
	v_mul_f64 v[241:242], v[233:234], s[36:37]
	v_fma_f64 v[247:248], v[197:198], s[24:25], -v[235:236]
	v_add_f64 v[0:1], v[0:1], v[2:3]
	v_fma_f64 v[44:45], v[231:232], s[18:19], -v[44:45]
	v_mul_f64 v[18:19], v[225:226], s[36:37]
	v_fma_f64 v[42:43], v[215:216], s[22:23], v[42:43]
	v_add_f64 v[2:3], v[221:222], v[14:15]
	v_add_f64 v[219:220], v[223:224], v[219:220]
	v_mul_f64 v[223:224], v[245:246], s[26:27]
	v_fma_f64 v[221:222], v[215:216], s[34:35], -v[241:242]
	v_add_f64 v[0:1], v[247:248], v[0:1]
	v_fma_f64 v[40:41], v[227:228], s[18:19], v[40:41]
	v_fma_f64 v[14:15], v[217:218], s[34:35], v[18:19]
	v_mul_f64 v[249:250], v[239:240], s[26:27]
	v_add_f64 v[2:3], v[42:43], v[2:3]
	v_fma_f64 v[213:214], v[183:184], s[14:15], v[237:238]
	v_fma_f64 v[247:248], v[227:228], s[22:23], -v[223:224]
	v_fma_f64 v[235:236], v[197:198], s[24:25], v[235:236]
	v_add_f64 v[0:1], v[221:222], v[0:1]
	v_add_f64 v[221:222], v[44:45], v[12:13]
	v_fma_f64 v[44:45], v[169:170], s[30:31], v[46:47]
	v_add_f64 v[14:15], v[14:15], v[219:220]
	v_add_f64 v[219:220], v[40:41], v[2:3]
	v_mul_f64 v[2:3], v[179:180], s[26:27]
	v_fma_f64 v[42:43], v[231:232], s[22:23], v[249:250]
	v_fma_f64 v[18:19], v[217:218], s[34:35], -v[18:19]
	v_add_f64 v[164:165], v[247:248], v[0:1]
	v_fma_f64 v[0:1], v[175:176], s[18:19], v[207:208]
	v_add_f64 v[40:41], v[112:113], v[44:45]
	v_mul_f64 v[44:45], v[189:190], s[42:43]
	v_fma_f64 v[207:208], v[199:200], s[24:25], -v[243:244]
	v_fma_f64 v[46:47], v[171:172], s[22:23], v[2:3]
	v_add_f64 v[166:167], v[42:43], v[14:15]
	v_fma_f64 v[42:43], v[231:232], s[22:23], -v[249:250]
	v_fma_f64 v[223:224], v[227:228], s[22:23], v[223:224]
	v_fma_f64 v[2:3], v[171:172], s[22:23], -v[2:3]
	v_add_f64 v[0:1], v[0:1], v[40:41]
	v_mul_f64 v[40:41], v[191:192], s[36:37]
	v_fma_f64 v[237:238], v[177:178], s[30:31], v[44:45]
	v_add_f64 v[46:47], v[114:115], v[46:47]
	v_add_f64 v[16:17], v[207:208], v[16:17]
	v_fma_f64 v[207:208], v[215:216], s[34:35], v[241:242]
	v_mov_b32_e32 v12, v251
	v_mov_b32_e32 v13, v252
	v_add_f64 v[0:1], v[213:214], v[0:1]
	v_mul_f64 v[213:214], v[211:212], s[20:21]
	v_fma_f64 v[249:250], v[185:186], s[34:35], v[40:41]
	v_add_f64 v[46:47], v[237:238], v[46:47]
	v_add_f64 v[16:17], v[18:19], v[16:17]
	v_mov_b32_e32 v14, v253
	v_mov_b32_e32 v15, v254
	v_fma_f64 v[44:45], v[177:178], s[30:31], -v[44:45]
	v_add_f64 v[0:1], v[235:236], v[0:1]
	v_mul_f64 v[235:236], v[225:226], s[46:47]
	v_fma_f64 v[241:242], v[199:200], s[18:19], v[213:214]
	v_add_f64 v[46:47], v[249:250], v[46:47]
	v_add_f64 v[18:19], v[42:43], v[16:17]
	;; [unrolled: 1-line block ×3, first 2 shown]
	v_mul_f64 v[237:238], v[193:194], s[36:37]
	buffer_store_dword v193, off, s[52:55], 0 offset:328 ; 4-byte Folded Spill
	s_nop 0
	buffer_store_dword v194, off, s[52:55], 0 offset:332 ; 4-byte Folded Spill
	v_add_f64 v[0:1], v[207:208], v[0:1]
	v_fma_f64 v[247:248], v[169:170], s[22:23], -v[22:23]
	v_mov_b32_e32 v194, v188
	v_add_f64 v[46:47], v[241:242], v[46:47]
	v_fma_f64 v[241:242], v[217:218], s[24:25], v[235:236]
	v_add_f64 v[2:3], v[44:45], v[2:3]
	v_fma_f64 v[44:45], v[169:170], s[22:23], v[22:23]
	v_mov_b32_e32 v193, v187
	v_add_f64 v[16:17], v[223:224], v[0:1]
	v_mul_f64 v[223:224], v[239:240], s[44:45]
	v_mul_f64 v[243:244], v[30:31], s[42:43]
	v_add_f64 v[247:248], v[112:113], v[247:248]
	v_add_f64 v[46:47], v[241:242], v[46:47]
	v_fma_f64 v[249:250], v[183:184], s[34:35], -v[237:238]
	v_fma_f64 v[213:214], v[199:200], s[18:19], -v[213:214]
	s_waitcnt vmcnt(2)
	v_add_f64 v[253:254], v[173:174], -v[4:5]
	v_mov_b32_e32 v174, v7
	v_fma_f64 v[4:5], v[231:232], s[14:15], v[223:224]
	v_mov_b32_e32 v173, v6
	buffer_load_dword v6, off, s[52:55], 0 offset:352 ; 4-byte Folded Reload
	buffer_load_dword v7, off, s[52:55], 0 offset:356 ; 4-byte Folded Reload
	v_fma_f64 v[251:252], v[175:176], s[30:31], -v[243:244]
	v_mul_f64 v[207:208], v[225:226], s[16:17]
	v_fma_f64 v[243:244], v[175:176], s[30:31], v[243:244]
	v_add_f64 v[253:254], v[114:115], v[253:254]
	v_add_f64 v[44:45], v[112:113], v[44:45]
	;; [unrolled: 1-line block ×3, first 2 shown]
	v_fma_f64 v[4:5], v[185:186], s[34:35], -v[40:41]
	buffer_load_dword v40, off, s[52:55], 0 offset:296 ; 4-byte Folded Reload
	buffer_load_dword v41, off, s[52:55], 0 offset:300 ; 4-byte Folded Reload
	v_add_f64 v[247:248], v[251:252], v[247:248]
	v_mul_f64 v[251:252], v[209:210], s[20:21]
	v_add_f64 v[195:196], v[195:196], -v[207:208]
	v_fma_f64 v[207:208], v[231:232], s[14:15], -v[223:224]
	v_mul_f64 v[0:1], v[233:234], s[46:47]
	v_fma_f64 v[237:238], v[183:184], s[34:35], v[237:238]
	v_add_f64 v[2:3], v[4:5], v[2:3]
	v_add_f64 v[44:45], v[243:244], v[44:45]
	;; [unrolled: 1-line block ×3, first 2 shown]
	v_fma_f64 v[249:250], v[197:198], s[18:19], -v[251:252]
	v_mov_b32_e32 v31, v9
	v_mov_b32_e32 v30, v8
	v_mul_f64 v[8:9], v[227:228], s[30:31]
	v_mul_f64 v[241:242], v[239:240], s[36:37]
	v_add_f64 v[2:3], v[213:214], v[2:3]
	v_add_f64 v[44:45], v[237:238], v[44:45]
	s_mov_b32 s37, 0xbfddbe06
	v_add_f64 v[247:248], v[249:250], v[247:248]
	v_fma_f64 v[249:250], v[215:216], s[24:25], -v[0:1]
	v_fma_f64 v[0:1], v[215:216], s[24:25], v[0:1]
	v_mul_f64 v[189:190], v[189:190], s[16:17]
	v_add_f64 v[118:119], v[118:119], v[130:131]
	v_mul_f64 v[42:43], v[227:228], s[34:35]
	v_fma_f64 v[130:131], v[197:198], s[22:23], -v[146:147]
	v_add_f64 v[247:248], v[249:250], v[247:248]
	v_mul_f64 v[249:250], v[239:240], s[40:41]
	v_add_f64 v[118:119], v[118:119], v[126:127]
	v_add_f64 v[118:119], v[118:119], v[110:111]
	s_waitcnt vmcnt(2)
	v_add_f64 v[6:7], v[181:182], -v[6:7]
	v_mul_f64 v[181:182], v[245:246], s[44:45]
	s_waitcnt vmcnt(0)
	v_add_f64 v[40:41], v[40:41], v[10:11]
	buffer_load_dword v10, off, s[52:55], 0 offset:368 ; 4-byte Folded Reload
	buffer_load_dword v11, off, s[52:55], 0 offset:372 ; 4-byte Folded Reload
	v_add_f64 v[6:7], v[6:7], v[253:254]
	v_fma_f64 v[46:47], v[227:228], s[14:15], -v[181:182]
	v_add_f64 v[40:41], v[112:113], v[40:41]
	s_waitcnt vmcnt(0)
	v_add_f64 v[20:21], v[20:21], -v[10:11]
	buffer_load_dword v4, off, s[52:55], 0 offset:320 ; 4-byte Folded Reload
	buffer_load_dword v5, off, s[52:55], 0 offset:324 ; 4-byte Folded Reload
	;; [unrolled: 1-line block ×4, first 2 shown]
	v_add_f64 v[6:7], v[20:21], v[6:7]
	v_fma_f64 v[20:21], v[217:218], s[24:25], -v[235:236]
	v_mov_b32_e32 v238, v35
	v_mov_b32_e32 v237, v34
	v_mov_b32_e32 v236, v33
	v_mov_b32_e32 v235, v32
	v_add_f64 v[2:3], v[20:21], v[2:3]
	v_add_f64 v[20:21], v[46:47], v[247:248]
	s_waitcnt vmcnt(0)
	v_add_f64 v[4:5], v[4:5], v[10:11]
	buffer_load_dword v10, off, s[52:55], 0 offset:392 ; 4-byte Folded Reload
	buffer_load_dword v11, off, s[52:55], 0 offset:396 ; 4-byte Folded Reload
	v_add_f64 v[4:5], v[4:5], v[40:41]
	v_fma_f64 v[40:41], v[197:198], s[18:19], v[251:252]
	v_mov_b32_e32 v254, v15
	v_mov_b32_e32 v253, v14
	;; [unrolled: 1-line block ×4, first 2 shown]
	v_add_f64 v[40:41], v[40:41], v[44:45]
	v_add_f64 v[44:45], v[205:206], -v[249:250]
	v_mov_b32_e32 v250, v51
	v_mov_b32_e32 v249, v50
	;; [unrolled: 1-line block ×4, first 2 shown]
	v_add_f64 v[40:41], v[0:1], v[40:41]
	s_waitcnt vmcnt(0)
	v_add_f64 v[229:230], v[229:230], -v[10:11]
	buffer_load_dword v10, off, s[52:55], 0 offset:344 ; 4-byte Folded Reload
	buffer_load_dword v11, off, s[52:55], 0 offset:348 ; 4-byte Folded Reload
	;; [unrolled: 1-line block ×4, first 2 shown]
	v_add_f64 v[6:7], v[229:230], v[6:7]
	buffer_load_dword v230, off, s[52:55], 0 offset:172 ; 4-byte Folded Reload
	buffer_load_dword v229, off, s[52:55], 0 offset:168 ; 4-byte Folded Reload
	v_add_f64 v[6:7], v[195:196], v[6:7]
	v_add_f64 v[195:196], v[44:45], v[6:7]
	s_waitcnt vmcnt(2)
	v_add_f64 v[213:214], v[10:11], v[187:188]
	buffer_load_dword v10, off, s[52:55], 0 offset:360 ; 4-byte Folded Reload
	buffer_load_dword v11, off, s[52:55], 0 offset:364 ; 4-byte Folded Reload
	;; [unrolled: 1-line block ×4, first 2 shown]
	v_add_f64 v[187:188], v[207:208], v[2:3]
	v_mov_b32_e32 v208, v25
	v_mov_b32_e32 v207, v24
	v_add_f64 v[4:5], v[213:214], v[4:5]
	buffer_load_dword v214, off, s[52:55], 0 offset:164 ; 4-byte Folded Reload
	buffer_load_dword v213, off, s[52:55], 0 offset:160 ; 4-byte Folded Reload
	s_waitcnt vmcnt(2)
	v_add_f64 v[223:224], v[10:11], v[12:13]
	buffer_load_dword v10, off, s[52:55], 0 offset:96 ; 4-byte Folded Reload
	buffer_load_dword v11, off, s[52:55], 0 offset:100 ; 4-byte Folded Reload
	;; [unrolled: 1-line block ×4, first 2 shown]
	v_add_f64 v[4:5], v[223:224], v[4:5]
	s_waitcnt vmcnt(0)
	v_add_f64 v[46:47], v[12:13], v[10:11]
	buffer_load_dword v10, off, s[52:55], 0 offset:272 ; 4-byte Folded Reload
	buffer_load_dword v11, off, s[52:55], 0 offset:276 ; 4-byte Folded Reload
	;; [unrolled: 1-line block ×8, first 2 shown]
	v_add_f64 v[4:5], v[46:47], v[4:5]
	v_mul_f64 v[46:47], v[179:180], s[36:37]
	s_waitcnt vmcnt(4)
	v_add_f64 v[205:206], v[12:13], -v[10:11]
	v_fma_f64 v[10:11], v[227:228], s[14:15], v[181:182]
	s_waitcnt vmcnt(0)
	v_add_f64 v[6:7], v[8:9], v[0:1]
	buffer_load_dword v0, off, s[52:55], 0 offset:264 ; 4-byte Folded Reload
	buffer_load_dword v1, off, s[52:55], 0 offset:268 ; 4-byte Folded Reload
	;; [unrolled: 1-line block ×8, first 2 shown]
	s_waitcnt vmcnt(4)
	v_add_f64 v[0:1], v[2:3], -v[0:1]
	s_waitcnt vmcnt(0)
	v_add_f64 v[8:9], v[8:9], v[12:13]
	buffer_load_dword v12, off, s[52:55], 0 offset:104 ; 4-byte Folded Reload
	buffer_load_dword v13, off, s[52:55], 0 offset:108 ; 4-byte Folded Reload
	v_add_f64 v[2:3], v[114:115], v[205:206]
	v_fma_f64 v[205:206], v[171:172], s[34:35], v[46:47]
	v_fma_f64 v[46:47], v[171:172], s[34:35], -v[46:47]
	v_add_f64 v[8:9], v[112:113], v[8:9]
	v_add_f64 v[0:1], v[0:1], v[2:3]
	;; [unrolled: 1-line block ×4, first 2 shown]
	s_waitcnt vmcnt(0)
	v_add_f64 v[44:45], v[12:13], -v[241:242]
	buffer_load_dword v12, off, s[52:55], 0 offset:336 ; 4-byte Folded Reload
	buffer_load_dword v13, off, s[52:55], 0 offset:340 ; 4-byte Folded Reload
	v_mov_b32_e32 v244, v39
	v_mov_b32_e32 v243, v38
	;; [unrolled: 1-line block ×64, first 2 shown]
	s_waitcnt vmcnt(0)
	v_add_f64 v[179:180], v[193:194], -v[12:13]
	buffer_load_dword v12, off, s[52:55], 0 offset:256 ; 4-byte Folded Reload
	buffer_load_dword v13, off, s[52:55], 0 offset:260 ; 4-byte Folded Reload
	;; [unrolled: 1-line block ×6, first 2 shown]
	v_add_f64 v[193:194], v[6:7], v[4:5]
	s_waitcnt vmcnt(2)
	v_add_f64 v[201:202], v[14:15], -v[12:13]
	buffer_load_dword v12, off, s[52:55], 0 offset:280 ; 4-byte Folded Reload
	buffer_load_dword v13, off, s[52:55], 0 offset:284 ; 4-byte Folded Reload
	;; [unrolled: 1-line block ×4, first 2 shown]
	s_waitcnt vmcnt(4)
	v_add_f64 v[2:3], v[2:3], v[173:174]
	v_add_f64 v[0:1], v[201:202], v[0:1]
	v_add_f64 v[2:3], v[2:3], v[8:9]
	v_mul_f64 v[8:9], v[191:192], s[20:21]
	v_fma_f64 v[191:192], v[177:178], s[14:15], v[189:190]
	v_add_f64 v[191:192], v[191:192], v[205:206]
	s_waitcnt vmcnt(0)
	v_add_f64 v[203:204], v[14:15], -v[12:13]
	buffer_load_dword v12, off, s[52:55], 0 offset:192 ; 4-byte Folded Reload
	buffer_load_dword v13, off, s[52:55], 0 offset:196 ; 4-byte Folded Reload
	v_add_f64 v[0:1], v[203:204], v[0:1]
	v_add_f64 v[0:1], v[179:180], v[0:1]
	v_add_f64 v[116:117], v[44:45], v[0:1]
	s_waitcnt vmcnt(0)
	v_add_f64 v[201:202], v[12:13], v[30:31]
	buffer_load_dword v12, off, s[52:55], 0 offset:208 ; 4-byte Folded Reload
	buffer_load_dword v13, off, s[52:55], 0 offset:212 ; 4-byte Folded Reload
	buffer_load_dword v14, off, s[52:55], 0 offset:224 ; 4-byte Folded Reload
	buffer_load_dword v15, off, s[52:55], 0 offset:228 ; 4-byte Folded Reload
	v_add_f64 v[2:3], v[201:202], v[2:3]
	v_fma_f64 v[201:202], v[185:186], s[18:19], v[8:9]
	v_fma_f64 v[8:9], v[185:186], s[18:19], -v[8:9]
	v_add_f64 v[185:186], v[10:11], v[40:41]
	v_add_f64 v[179:180], v[201:202], v[191:192]
	s_waitcnt vmcnt(0)
	v_add_f64 v[120:121], v[12:13], v[14:15]
	buffer_load_dword v12, off, s[52:55], 0 offset:232 ; 4-byte Folded Reload
	buffer_load_dword v13, off, s[52:55], 0 offset:236 ; 4-byte Folded Reload
	;; [unrolled: 1-line block ×6, first 2 shown]
	v_add_f64 v[2:3], v[120:121], v[2:3]
	v_mul_f64 v[120:121], v[225:226], s[40:41]
	s_waitcnt vmcnt(2)
	v_add_f64 v[132:133], v[14:15], v[12:13]
	buffer_load_dword v12, off, s[52:55], 0 offset:400 ; 4-byte Folded Reload
	buffer_load_dword v13, off, s[52:55], 0 offset:404 ; 4-byte Folded Reload
	s_waitcnt vmcnt(2)
	v_add_f64 v[42:43], v[42:43], v[0:1]
	v_mul_f64 v[0:1], v[239:240], s[28:29]
	v_add_f64 v[44:45], v[132:133], v[2:3]
	v_add_f64 v[132:133], v[134:135], v[179:180]
	;; [unrolled: 1-line block ×3, first 2 shown]
	v_mul_f64 v[144:145], v[233:234], s[40:41]
	v_fma_f64 v[2:3], v[217:218], s[30:31], v[120:121]
	v_fma_f64 v[126:127], v[231:232], s[24:25], -v[0:1]
	v_fma_f64 v[120:121], v[217:218], s[30:31], -v[120:121]
	v_add_f64 v[134:135], v[134:135], v[152:153]
	v_add_f64 v[134:135], v[134:135], v[148:149]
	;; [unrolled: 1-line block ×5, first 2 shown]
	v_fma_f64 v[128:129], v[227:228], s[24:25], -v[142:143]
	v_add_f64 v[108:109], v[124:125], v[108:109]
	v_add_f64 v[124:125], v[2:3], v[132:133]
	;; [unrolled: 1-line block ×3, first 2 shown]
	s_waitcnt vmcnt(0)
	v_mul_f64 v[140:141], v[12:13], s[36:37]
	buffer_load_dword v12, off, s[52:55], 0 offset:408 ; 4-byte Folded Reload
	buffer_load_dword v13, off, s[52:55], 0 offset:412 ; 4-byte Folded Reload
	v_fma_f64 v[152:153], v[169:170], s[34:35], v[140:141]
	v_fma_f64 v[140:141], v[169:170], s[34:35], -v[140:141]
	v_fma_f64 v[169:170], v[177:178], s[14:15], -v[189:190]
	v_add_f64 v[148:149], v[112:113], v[152:153]
	v_add_f64 v[112:113], v[112:113], v[140:141]
	;; [unrolled: 1-line block ×4, first 2 shown]
	v_fma_f64 v[46:47], v[197:198], s[22:23], v[146:147]
	v_add_f64 v[8:9], v[122:123], v[8:9]
	v_fma_f64 v[122:123], v[215:216], s[30:31], v[144:145]
	v_add_f64 v[8:9], v[120:121], v[8:9]
	;; [unrolled: 2-line block ×3, first 2 shown]
	s_waitcnt vmcnt(0)
	v_mul_f64 v[171:172], v[12:13], s[16:17]
	buffer_load_dword v12, off, s[52:55], 0 offset:328 ; 4-byte Folded Reload
	buffer_load_dword v13, off, s[52:55], 0 offset:332 ; 4-byte Folded Reload
	;; [unrolled: 1-line block ×6, first 2 shown]
	v_fma_f64 v[114:115], v[175:176], s[14:15], v[171:172]
	v_fma_f64 v[150:151], v[175:176], s[14:15], -v[171:172]
	v_add_f64 v[114:115], v[114:115], v[148:149]
	v_add_f64 v[112:113], v[150:151], v[112:113]
	s_waitcnt vmcnt(4)
	v_mul_f64 v[154:155], v[12:13], s[20:21]
	v_fma_f64 v[140:141], v[183:184], s[18:19], v[154:155]
	v_fma_f64 v[136:137], v[183:184], s[18:19], -v[154:155]
	v_add_f64 v[114:115], v[140:141], v[114:115]
	v_add_f64 v[112:113], v[136:137], v[112:113]
	;; [unrolled: 1-line block ×3, first 2 shown]
	v_fma_f64 v[114:115], v[215:216], s[30:31], -v[144:145]
	v_add_f64 v[112:113], v[130:131], v[112:113]
	v_add_f64 v[46:47], v[122:123], v[46:47]
	v_fma_f64 v[122:123], v[231:232], s[24:25], v[0:1]
	v_add_f64 v[0:1], v[108:109], v[26:27]
	buffer_load_dword v24, off, s[52:55], 0 offset:128 ; 4-byte Folded Reload
	buffer_load_dword v25, off, s[52:55], 0 offset:132 ; 4-byte Folded Reload
	;; [unrolled: 1-line block ×4, first 2 shown]
	buffer_load_dword v4, off, s[52:55], 0  ; 4-byte Folded Reload
	v_add_f64 v[112:113], v[114:115], v[112:113]
	v_add_f64 v[114:115], v[42:43], v[44:45]
	;; [unrolled: 1-line block ×5, first 2 shown]
	s_waitcnt vmcnt(0)
	v_lshlrev_b32_e32 v4, 4, v4
	ds_write_b128 v4, v[0:3]
	ds_write_b128 v4, v[108:111] offset:16
	ds_write_b128 v4, v[114:117] offset:32
	;; [unrolled: 1-line block ×6, first 2 shown]
	buffer_load_dword v0, off, s[52:55], 0 offset:176 ; 4-byte Folded Reload
	buffer_load_dword v1, off, s[52:55], 0 offset:180 ; 4-byte Folded Reload
	;; [unrolled: 1-line block ×4, first 2 shown]
	s_waitcnt vmcnt(0)
	ds_write_b128 v4, v[0:3] offset:112
	ds_write_b128 v4, v[164:167] offset:128
	;; [unrolled: 1-line block ×6, first 2 shown]
.LBB0_21:
	s_or_b64 exec, exec, s[38:39]
	s_waitcnt lgkmcnt(0)
	s_barrier
	ds_read_b128 v[120:123], v255
	ds_read_b128 v[116:119], v255 offset:2496
	ds_read_b128 v[128:131], v255 offset:16224
	;; [unrolled: 1-line block ×9, first 2 shown]
	s_and_saveexec_b64 s[14:15], s[2:3]
	s_cbranch_execz .LBB0_23
; %bb.22:
	ds_read_b128 v[156:159], v255 offset:12480
	ds_read_b128 v[160:163], v255 offset:26208
.LBB0_23:
	s_or_b64 exec, exec, s[14:15]
	s_waitcnt lgkmcnt(7)
	v_mul_f64 v[8:9], v[26:27], v[130:131]
	v_mul_f64 v[10:11], v[26:27], v[128:129]
	s_waitcnt lgkmcnt(1)
	v_mul_f64 v[16:17], v[35:36], v[138:139]
	v_mul_f64 v[18:19], v[35:36], v[136:137]
	;; [unrolled: 1-line block ×6, first 2 shown]
	v_fma_f64 v[8:9], v[24:25], v[128:129], v[8:9]
	v_fma_f64 v[10:11], v[24:25], v[130:131], -v[10:11]
	v_fma_f64 v[30:31], v[33:34], v[136:137], v[16:17]
	v_fma_f64 v[24:25], v[33:34], v[138:139], -v[18:19]
	buffer_load_dword v32, off, s[52:55], 0 offset:4 ; 4-byte Folded Reload
	buffer_load_dword v33, off, s[52:55], 0 offset:8 ; 4-byte Folded Reload
	;; [unrolled: 1-line block ×8, first 2 shown]
	v_fma_f64 v[4:5], v[28:29], v[140:141], v[4:5]
	v_fma_f64 v[6:7], v[28:29], v[142:143], -v[6:7]
	v_fma_f64 v[26:27], v[251:252], v[132:133], v[12:13]
	v_fma_f64 v[28:29], v[251:252], v[134:135], -v[14:15]
	v_add_f64 v[16:17], v[116:117], -v[8:9]
	v_add_f64 v[18:19], v[118:119], -v[10:11]
	s_waitcnt vmcnt(0) lgkmcnt(0)
	s_barrier
	v_add_f64 v[12:13], v[120:121], -v[4:5]
	v_add_f64 v[14:15], v[122:123], -v[6:7]
	;; [unrolled: 1-line block ×4, first 2 shown]
	v_fma_f64 v[0:1], v[0:1], 2.0, -v[4:5]
	v_fma_f64 v[2:3], v[2:3], 2.0, -v[6:7]
	v_mul_f64 v[20:21], v[34:35], v[126:127]
	v_mul_f64 v[22:23], v[34:35], v[124:125]
	;; [unrolled: 1-line block ×4, first 2 shown]
	v_fma_f64 v[8:9], v[32:33], v[124:125], v[20:21]
	v_fma_f64 v[10:11], v[32:33], v[126:127], -v[22:23]
	v_fma_f64 v[20:21], v[120:121], 2.0, -v[12:13]
	v_fma_f64 v[22:23], v[122:123], 2.0, -v[14:15]
	v_fma_f64 v[32:33], v[36:37], v[160:161], v[34:35]
	v_fma_f64 v[34:35], v[36:37], v[162:163], -v[38:39]
	v_fma_f64 v[36:37], v[116:117], 2.0, -v[16:17]
	v_fma_f64 v[38:39], v[118:119], 2.0, -v[18:19]
	ds_write_b128 v230, v[20:23]
	ds_write_b128 v230, v[12:15] offset:208
	ds_write_b128 v229, v[36:39]
	ds_write_b128 v229, v[16:19] offset:208
	buffer_load_dword v12, off, s[52:55], 0 offset:44 ; 4-byte Folded Reload
	v_add_f64 v[116:117], v[108:109], -v[26:27]
	v_add_f64 v[118:119], v[110:111], -v[28:29]
	;; [unrolled: 1-line block ×6, first 2 shown]
	v_fma_f64 v[108:109], v[108:109], 2.0, -v[116:117]
	v_fma_f64 v[110:111], v[110:111], 2.0, -v[118:119]
	;; [unrolled: 1-line block ×6, first 2 shown]
	s_waitcnt vmcnt(0)
	ds_write_b128 v12, v[108:111]
	ds_write_b128 v12, v[116:119] offset:208
	buffer_load_dword v12, off, s[52:55], 0 offset:40 ; 4-byte Folded Reload
	s_waitcnt vmcnt(0)
	ds_write_b128 v12, v[0:3]
	ds_write_b128 v12, v[4:7] offset:208
	buffer_load_dword v12, off, s[52:55], 0 offset:36 ; 4-byte Folded Reload
	s_waitcnt vmcnt(0)
	ds_write_b128 v12, v[24:27]
	ds_write_b128 v12, v[8:11] offset:208
	s_and_saveexec_b64 s[14:15], s[2:3]
	s_cbranch_execz .LBB0_25
; %bb.24:
	v_mad_legacy_u16 v12, v223, 26, v224
	v_lshlrev_b32_e32 v12, 4, v12
	ds_write_b128 v12, v[28:31]
	ds_write_b128 v12, v[32:35] offset:208
.LBB0_25:
	s_or_b64 exec, exec, s[14:15]
	s_waitcnt lgkmcnt(0)
	s_barrier
	ds_read_b128 v[36:39], v255
	ds_read_b128 v[108:111], v255 offset:4576
	ds_read_b128 v[120:123], v255 offset:9152
	;; [unrolled: 1-line block ×5, first 2 shown]
	s_and_saveexec_b64 s[2:3], s[4:5]
	s_cbranch_execz .LBB0_27
; %bb.26:
	ds_read_b128 v[0:3], v255 offset:2496
	ds_read_b128 v[4:7], v255 offset:7072
	;; [unrolled: 1-line block ×6, first 2 shown]
.LBB0_27:
	s_or_b64 exec, exec, s[2:3]
	buffer_load_dword v48, off, s[52:55], 0 offset:48 ; 4-byte Folded Reload
	buffer_load_dword v49, off, s[52:55], 0 offset:52 ; 4-byte Folded Reload
	;; [unrolled: 1-line block ×4, first 2 shown]
	s_waitcnt lgkmcnt(3)
	v_mul_f64 v[12:13], v[66:67], v[122:123]
	s_waitcnt lgkmcnt(1)
	v_mul_f64 v[14:15], v[62:63], v[126:127]
	v_mul_f64 v[18:19], v[54:55], v[112:113]
	s_waitcnt lgkmcnt(0)
	v_mul_f64 v[22:23], v[58:59], v[116:117]
	v_mul_f64 v[16:17], v[66:67], v[120:121]
	;; [unrolled: 1-line block ×5, first 2 shown]
	v_fma_f64 v[12:13], v[64:65], v[120:121], v[12:13]
	v_fma_f64 v[14:15], v[60:61], v[124:125], v[14:15]
	v_fma_f64 v[18:19], v[52:53], v[114:115], -v[18:19]
	v_fma_f64 v[22:23], v[56:57], v[118:119], -v[22:23]
	v_fma_f64 v[16:17], v[64:65], v[122:123], -v[16:17]
	v_fma_f64 v[20:21], v[60:61], v[126:127], -v[20:21]
	v_fma_f64 v[42:43], v[52:53], v[112:113], v[42:43]
	v_fma_f64 v[44:45], v[56:57], v[116:117], v[44:45]
	v_add_f64 v[52:53], v[36:37], v[12:13]
	v_add_f64 v[46:47], v[12:13], v[14:15]
	s_mov_b32 s2, 0xe8584caa
	v_add_f64 v[56:57], v[18:19], v[22:23]
	s_mov_b32 s3, 0xbfebb67a
	v_add_f64 v[54:55], v[16:17], -v[20:21]
	s_mov_b32 s15, 0x3febb67a
	s_mov_b32 s14, s2
	v_add_f64 v[60:61], v[38:39], v[16:17]
	v_fma_f64 v[36:37], v[46:47], -0.5, v[36:37]
	v_add_f64 v[16:17], v[16:17], v[20:21]
	v_add_f64 v[62:63], v[18:19], -v[22:23]
	v_add_f64 v[52:53], v[52:53], v[14:15]
	v_add_f64 v[12:13], v[12:13], -v[14:15]
	s_waitcnt vmcnt(0)
	s_barrier
	v_fma_f64 v[58:59], v[54:55], s[2:3], v[36:37]
	v_fma_f64 v[54:55], v[54:55], s[14:15], v[36:37]
	v_fma_f64 v[16:17], v[16:17], -0.5, v[38:39]
	v_mul_f64 v[40:41], v[50:51], v[108:109]
	v_mul_f64 v[50:51], v[50:51], v[110:111]
	v_fma_f64 v[40:41], v[48:49], v[110:111], -v[40:41]
	v_fma_f64 v[46:47], v[48:49], v[108:109], v[50:51]
	v_add_f64 v[48:49], v[42:43], v[44:45]
	v_add_f64 v[50:51], v[42:43], -v[44:45]
	v_fma_f64 v[56:57], v[56:57], -0.5, v[40:41]
	v_add_f64 v[14:15], v[46:47], v[42:43]
	v_fma_f64 v[48:49], v[48:49], -0.5, v[46:47]
	v_add_f64 v[18:19], v[40:41], v[18:19]
	v_fma_f64 v[36:37], v[50:51], s[14:15], v[56:57]
	v_fma_f64 v[50:51], v[50:51], s[2:3], v[56:57]
	v_add_f64 v[56:57], v[60:61], v[20:21]
	v_fma_f64 v[20:21], v[62:63], s[2:3], v[48:49]
	v_fma_f64 v[38:39], v[62:63], s[14:15], v[48:49]
	v_add_f64 v[44:45], v[14:15], v[44:45]
	v_add_f64 v[62:63], v[18:19], v[22:23]
	v_fma_f64 v[60:61], v[12:13], s[2:3], v[16:17]
	v_mul_f64 v[42:43], v[36:37], s[2:3]
	v_mul_f64 v[36:37], v[36:37], 0.5
	v_mul_f64 v[46:47], v[50:51], s[2:3]
	v_mul_f64 v[40:41], v[50:51], -0.5
	v_fma_f64 v[50:51], v[12:13], s[14:15], v[16:17]
	v_add_f64 v[12:13], v[52:53], v[44:45]
	v_add_f64 v[14:15], v[56:57], v[62:63]
	v_fma_f64 v[42:43], v[20:21], 0.5, v[42:43]
	v_fma_f64 v[64:65], v[20:21], s[14:15], v[36:37]
	v_fma_f64 v[46:47], v[38:39], -0.5, v[46:47]
	v_fma_f64 v[40:41], v[38:39], s[14:15], v[40:41]
	v_add_f64 v[36:37], v[52:53], -v[44:45]
	v_add_f64 v[38:39], v[56:57], -v[62:63]
	v_add_f64 v[16:17], v[58:59], v[42:43]
	v_add_f64 v[18:19], v[50:51], v[64:65]
	;; [unrolled: 1-line block ×4, first 2 shown]
	v_add_f64 v[48:49], v[58:59], -v[42:43]
	v_add_f64 v[50:51], v[50:51], -v[64:65]
	;; [unrolled: 1-line block ×4, first 2 shown]
	ds_write_b128 v168, v[12:15]
	ds_write_b128 v168, v[16:19] offset:416
	ds_write_b128 v168, v[20:23] offset:832
	;; [unrolled: 1-line block ×5, first 2 shown]
	s_and_saveexec_b64 s[16:17], s[4:5]
	s_cbranch_execz .LBB0_29
; %bb.28:
	buffer_load_dword v38, off, s[52:55], 0 offset:64 ; 4-byte Folded Reload
	buffer_load_dword v39, off, s[52:55], 0 offset:68 ; 4-byte Folded Reload
	;; [unrolled: 1-line block ×4, first 2 shown]
	v_mul_f64 v[14:15], v[237:238], v[8:9]
	v_mul_f64 v[12:13], v[249:250], v[24:25]
	;; [unrolled: 1-line block ×5, first 2 shown]
	v_fma_f64 v[10:11], v[235:236], v[10:11], -v[14:15]
	v_fma_f64 v[12:13], v[247:248], v[26:27], -v[12:13]
	v_mul_f64 v[26:27], v[243:244], v[30:31]
	v_fma_f64 v[18:19], v[241:242], v[30:31], -v[18:19]
	v_fma_f64 v[20:21], v[247:248], v[24:25], v[20:21]
	v_fma_f64 v[8:9], v[235:236], v[8:9], v[22:23]
	;; [unrolled: 1-line block ×3, first 2 shown]
	s_waitcnt vmcnt(0)
	v_mul_f64 v[16:17], v[40:41], v[32:33]
	v_mul_f64 v[36:37], v[40:41], v[34:35]
	buffer_load_dword v40, off, s[52:55], 0 offset:80 ; 4-byte Folded Reload
	buffer_load_dword v41, off, s[52:55], 0 offset:84 ; 4-byte Folded Reload
	;; [unrolled: 1-line block ×4, first 2 shown]
	v_fma_f64 v[16:17], v[38:39], v[34:35], -v[16:17]
	v_fma_f64 v[22:23], v[38:39], v[32:33], v[36:37]
	v_add_f64 v[32:33], v[20:21], -v[26:27]
	v_add_f64 v[36:37], v[2:3], v[12:13]
	v_add_f64 v[34:35], v[10:11], -v[16:17]
	v_add_f64 v[28:29], v[8:9], v[22:23]
	v_add_f64 v[30:31], v[8:9], -v[22:23]
	s_waitcnt vmcnt(0)
	v_mul_f64 v[14:15], v[42:43], v[4:5]
	v_mul_f64 v[24:25], v[42:43], v[6:7]
	v_fma_f64 v[6:7], v[40:41], v[6:7], -v[14:15]
	v_add_f64 v[14:15], v[10:11], v[16:17]
	v_fma_f64 v[4:5], v[40:41], v[4:5], v[24:25]
	v_add_f64 v[24:25], v[12:13], v[18:19]
	v_add_f64 v[12:13], v[12:13], -v[18:19]
	v_fma_f64 v[14:15], v[14:15], -0.5, v[6:7]
	v_add_f64 v[6:7], v[6:7], v[10:11]
	v_add_f64 v[10:11], v[20:21], v[26:27]
	v_fma_f64 v[28:29], v[28:29], -0.5, v[4:5]
	v_fma_f64 v[2:3], v[24:25], -0.5, v[2:3]
	v_add_f64 v[20:21], v[0:1], v[20:21]
	v_add_f64 v[4:5], v[4:5], v[8:9]
	;; [unrolled: 1-line block ×3, first 2 shown]
	v_fma_f64 v[38:39], v[30:31], s[2:3], v[14:15]
	v_fma_f64 v[14:15], v[30:31], s[14:15], v[14:15]
	v_fma_f64 v[0:1], v[10:11], -0.5, v[0:1]
	v_fma_f64 v[18:19], v[34:35], s[14:15], v[28:29]
	v_fma_f64 v[24:25], v[34:35], s[2:3], v[28:29]
	v_fma_f64 v[34:35], v[32:33], s[2:3], v[2:3]
	v_fma_f64 v[32:33], v[32:33], s[14:15], v[2:3]
	v_add_f64 v[16:17], v[6:7], v[16:17]
	v_mul_f64 v[28:29], v[38:39], -0.5
	v_mul_f64 v[30:31], v[14:15], 0.5
	v_mul_f64 v[2:3], v[14:15], s[2:3]
	v_mul_f64 v[10:11], v[38:39], s[2:3]
	v_add_f64 v[26:27], v[20:21], v[26:27]
	v_add_f64 v[4:5], v[4:5], v[22:23]
	v_fma_f64 v[38:39], v[12:13], s[2:3], v[0:1]
	v_add_f64 v[22:23], v[8:9], v[16:17]
	v_fma_f64 v[14:15], v[18:19], s[14:15], v[28:29]
	v_fma_f64 v[28:29], v[24:25], s[14:15], v[30:31]
	v_fma_f64 v[24:25], v[24:25], 0.5, v[2:3]
	v_fma_f64 v[30:31], v[12:13], s[14:15], v[0:1]
	v_fma_f64 v[36:37], v[18:19], -0.5, v[10:11]
	v_add_f64 v[20:21], v[26:27], v[4:5]
	v_add_f64 v[10:11], v[8:9], -v[16:17]
	v_add_f64 v[8:9], v[26:27], -v[4:5]
	;; [unrolled: 1-line block ×3, first 2 shown]
	v_add_f64 v[18:19], v[32:33], v[28:29]
	v_add_f64 v[16:17], v[38:39], v[24:25]
	;; [unrolled: 1-line block ×4, first 2 shown]
	v_add_f64 v[6:7], v[32:33], -v[28:29]
	v_add_f64 v[4:5], v[38:39], -v[24:25]
	;; [unrolled: 1-line block ×3, first 2 shown]
	s_movk_i32 s2, 0x9c
	v_mad_legacy_u16 v24, v213, s2, v214
	v_lshlrev_b32_e32 v24, 4, v24
	ds_write_b128 v24, v[20:23]
	ds_write_b128 v24, v[16:19] offset:416
	ds_write_b128 v24, v[12:15] offset:832
	;; [unrolled: 1-line block ×5, first 2 shown]
.LBB0_29:
	s_or_b64 exec, exec, s[16:17]
	s_waitcnt lgkmcnt(0)
	s_barrier
	ds_read_b128 v[0:3], v255 offset:2496
	ds_read_b128 v[8:11], v255 offset:7488
	;; [unrolled: 1-line block ×3, first 2 shown]
	s_mov_b32 s16, 0xf8bb580b
	s_mov_b32 s17, 0xbfe14ced
	s_waitcnt lgkmcnt(2)
	v_mul_f64 v[12:13], v[106:107], v[2:3]
	v_mul_f64 v[14:15], v[106:107], v[0:1]
	s_waitcnt lgkmcnt(1)
	v_mul_f64 v[20:21], v[82:83], v[10:11]
	v_mul_f64 v[22:23], v[82:83], v[8:9]
	s_mov_b32 s14, 0x8764f0ba
	s_mov_b32 s2, 0x8eee2c13
	;; [unrolled: 1-line block ×4, first 2 shown]
	v_fma_f64 v[28:29], v[104:105], v[0:1], v[12:13]
	v_fma_f64 v[30:31], v[104:105], v[2:3], -v[14:15]
	ds_read_b128 v[12:15], v255
	s_waitcnt lgkmcnt(1)
	v_mul_f64 v[16:17], v[98:99], v[6:7]
	v_mul_f64 v[18:19], v[98:99], v[4:5]
	ds_read_b128 v[0:3], v255 offset:9984
	v_fma_f64 v[36:37], v[80:81], v[8:9], v[20:21]
	v_fma_f64 v[38:39], v[80:81], v[10:11], -v[22:23]
	s_mov_b32 s24, 0x640f44db
	s_mov_b32 s28, 0xbb3a28a1
	;; [unrolled: 1-line block ×3, first 2 shown]
	v_fma_f64 v[32:33], v[96:97], v[4:5], v[16:17]
	v_fma_f64 v[34:35], v[96:97], v[6:7], -v[18:19]
	ds_read_b128 v[4:7], v255 offset:12480
	s_waitcnt lgkmcnt(2)
	v_add_f64 v[16:17], v[12:13], v[28:29]
	v_add_f64 v[18:19], v[14:15], v[30:31]
	s_waitcnt lgkmcnt(1)
	v_mul_f64 v[24:25], v[74:75], v[2:3]
	v_mul_f64 v[26:27], v[74:75], v[0:1]
	s_waitcnt lgkmcnt(0)
	v_mul_f64 v[40:41], v[102:103], v[6:7]
	v_mul_f64 v[42:43], v[102:103], v[4:5]
	s_mov_b32 s36, 0xfd768dbf
	s_mov_b32 s38, 0x9bcd5057
	v_add_f64 v[20:21], v[16:17], v[32:33]
	v_add_f64 v[22:23], v[18:19], v[34:35]
	v_fma_f64 v[44:45], v[72:73], v[0:1], v[24:25]
	v_fma_f64 v[46:47], v[72:73], v[2:3], -v[26:27]
	ds_read_b128 v[8:11], v255 offset:14976
	ds_read_b128 v[16:19], v255 offset:17472
	v_fma_f64 v[4:5], v[100:101], v[4:5], v[40:41]
	v_fma_f64 v[6:7], v[100:101], v[6:7], -v[42:43]
	s_mov_b32 s15, 0x3feaeb8c
	v_add_f64 v[48:49], v[20:21], v[36:37]
	v_add_f64 v[50:51], v[22:23], v[38:39]
	s_waitcnt lgkmcnt(1)
	v_mul_f64 v[52:53], v[86:87], v[10:11]
	v_mul_f64 v[54:55], v[86:87], v[8:9]
	ds_read_b128 v[0:3], v255 offset:19968
	ds_read_b128 v[20:23], v255 offset:22464
	;; [unrolled: 1-line block ×3, first 2 shown]
	s_mov_b32 s3, 0xbfed1bb4
	s_mov_b32 s5, 0x3fda9628
	s_waitcnt lgkmcnt(2)
	v_mul_f64 v[56:57], v[70:71], v[0:1]
	v_add_f64 v[40:41], v[48:49], v[44:45]
	v_add_f64 v[42:43], v[50:51], v[46:47]
	v_mul_f64 v[48:49], v[78:79], v[18:19]
	v_mul_f64 v[50:51], v[78:79], v[16:17]
	v_fma_f64 v[8:9], v[84:85], v[8:9], v[52:53]
	v_fma_f64 v[10:11], v[84:85], v[10:11], -v[54:55]
	s_waitcnt lgkmcnt(0)
	v_mul_f64 v[52:53], v[94:95], v[24:25]
	v_mul_f64 v[54:55], v[70:71], v[2:3]
	v_add_f64 v[40:41], v[40:41], v[4:5]
	v_add_f64 v[42:43], v[42:43], v[6:7]
	v_fma_f64 v[16:17], v[76:77], v[16:17], v[48:49]
	v_fma_f64 v[18:19], v[76:77], v[18:19], -v[50:51]
	v_mul_f64 v[48:49], v[94:95], v[26:27]
	v_mul_f64 v[50:51], v[90:91], v[22:23]
	v_fma_f64 v[26:27], v[92:93], v[26:27], -v[52:53]
	v_mul_f64 v[52:53], v[90:91], v[20:21]
	v_add_f64 v[40:41], v[40:41], v[8:9]
	v_add_f64 v[42:43], v[42:43], v[10:11]
	v_fma_f64 v[54:55], v[68:69], v[0:1], v[54:55]
	v_fma_f64 v[56:57], v[68:69], v[2:3], -v[56:57]
	v_fma_f64 v[24:25], v[92:93], v[24:25], v[48:49]
	v_fma_f64 v[20:21], v[88:89], v[20:21], v[50:51]
	s_mov_b32 s21, 0xbfefac9e
	v_fma_f64 v[22:23], v[88:89], v[22:23], -v[52:53]
	v_add_f64 v[0:1], v[40:41], v[16:17]
	v_add_f64 v[2:3], v[42:43], v[18:19]
	v_add_f64 v[40:41], v[30:31], -v[26:27]
	v_add_f64 v[30:31], v[30:31], v[26:27]
	v_add_f64 v[42:43], v[28:29], v[24:25]
	s_mov_b32 s25, 0xbfc2375f
	s_mov_b32 s29, 0xbfe82f19
	s_mov_b32 s31, 0xbfe4f49e
	v_add_f64 v[0:1], v[0:1], v[54:55]
	v_add_f64 v[2:3], v[2:3], v[56:57]
	v_mul_f64 v[48:49], v[40:41], s[16:17]
	s_mov_b32 s37, 0xbfd207e7
	s_mov_b32 s39, 0xbfeeb42a
	v_add_f64 v[28:29], v[28:29], -v[24:25]
	v_mul_f64 v[50:51], v[30:31], s[14:15]
	v_mul_f64 v[58:59], v[40:41], s[2:3]
	v_add_f64 v[0:1], v[0:1], v[20:21]
	v_add_f64 v[2:3], v[2:3], v[22:23]
	v_fma_f64 v[52:53], v[42:43], s[14:15], v[48:49]
	v_mul_f64 v[60:61], v[30:31], s[4:5]
	v_mul_f64 v[64:65], v[40:41], s[20:21]
	;; [unrolled: 1-line block ×7, first 2 shown]
	v_add_f64 v[80:81], v[34:35], -v[22:23]
	v_add_f64 v[22:23], v[34:35], v[22:23]
	s_mov_b32 s23, 0x3fe14ced
	s_mov_b32 s22, s16
	;; [unrolled: 1-line block ×10, first 2 shown]
	v_fma_f64 v[62:63], v[28:29], s[22:23], v[50:51]
	v_add_f64 v[0:1], v[0:1], v[24:25]
	v_add_f64 v[2:3], v[2:3], v[26:27]
	v_fma_f64 v[24:25], v[42:43], s[14:15], -v[48:49]
	v_add_f64 v[26:27], v[12:13], v[52:53]
	v_fma_f64 v[48:49], v[28:29], s[16:17], v[50:51]
	v_fma_f64 v[52:53], v[28:29], s[18:19], v[60:61]
	;; [unrolled: 1-line block ×9, first 2 shown]
	v_add_f64 v[84:85], v[32:33], v[20:21]
	v_add_f64 v[20:21], v[32:33], -v[20:21]
	v_mul_f64 v[32:33], v[80:81], s[2:3]
	v_mul_f64 v[86:87], v[22:23], s[4:5]
	v_fma_f64 v[28:29], v[28:29], s[36:37], v[30:31]
	v_fma_f64 v[50:51], v[42:43], s[4:5], v[58:59]
	v_add_f64 v[62:63], v[14:15], v[62:63]
	v_add_f64 v[24:25], v[12:13], v[24:25]
	;; [unrolled: 1-line block ×4, first 2 shown]
	v_fma_f64 v[58:59], v[42:43], s[4:5], -v[58:59]
	v_fma_f64 v[66:67], v[42:43], s[24:25], v[64:65]
	v_fma_f64 v[64:65], v[42:43], s[24:25], -v[64:65]
	v_fma_f64 v[76:77], v[42:43], s[30:31], v[70:71]
	v_add_f64 v[60:61], v[14:15], v[60:61]
	v_add_f64 v[74:75], v[14:15], v[74:75]
	;; [unrolled: 1-line block ×4, first 2 shown]
	v_fma_f64 v[70:71], v[42:43], s[30:31], -v[70:71]
	v_add_f64 v[72:73], v[14:15], v[72:73]
	v_fma_f64 v[40:41], v[42:43], s[38:39], -v[40:41]
	v_add_f64 v[30:31], v[12:13], v[34:35]
	v_add_f64 v[34:35], v[14:15], v[82:83]
	v_mul_f64 v[42:43], v[80:81], s[28:29]
	v_mul_f64 v[82:83], v[22:23], s[30:31]
	v_fma_f64 v[88:89], v[84:85], s[4:5], v[32:33]
	v_fma_f64 v[90:91], v[20:21], s[18:19], v[86:87]
	v_add_f64 v[14:15], v[14:15], v[28:29]
	v_fma_f64 v[28:29], v[84:85], s[4:5], -v[32:33]
	v_fma_f64 v[32:33], v[20:21], s[2:3], v[86:87]
	v_add_f64 v[50:51], v[12:13], v[50:51]
	v_add_f64 v[58:59], v[12:13], v[58:59]
	;; [unrolled: 1-line block ×7, first 2 shown]
	v_fma_f64 v[40:41], v[84:85], s[30:31], v[42:43]
	v_fma_f64 v[86:87], v[20:21], s[34:35], v[82:83]
	v_add_f64 v[26:27], v[88:89], v[26:27]
	v_add_f64 v[62:63], v[90:91], v[62:63]
	v_mul_f64 v[88:89], v[80:81], s[40:41]
	v_mul_f64 v[90:91], v[22:23], s[38:39]
	v_add_f64 v[24:25], v[28:29], v[24:25]
	v_add_f64 v[28:29], v[32:33], v[48:49]
	v_fma_f64 v[42:43], v[84:85], s[30:31], -v[42:43]
	v_fma_f64 v[48:49], v[20:21], s[28:29], v[82:83]
	v_mul_f64 v[82:83], v[80:81], s[26:27]
	v_add_f64 v[32:33], v[40:41], v[50:51]
	v_add_f64 v[40:41], v[86:87], v[52:53]
	v_fma_f64 v[50:51], v[84:85], s[38:39], v[88:89]
	v_fma_f64 v[52:53], v[20:21], s[36:37], v[90:91]
	v_mul_f64 v[86:87], v[22:23], s[24:25]
	v_fma_f64 v[90:91], v[20:21], s[40:41], v[90:91]
	v_add_f64 v[42:43], v[42:43], v[58:59]
	v_fma_f64 v[58:59], v[84:85], s[24:25], v[82:83]
	v_mul_f64 v[80:81], v[80:81], s[22:23]
	v_mul_f64 v[22:23], v[22:23], s[14:15]
	v_add_f64 v[50:51], v[50:51], v[66:67]
	v_add_f64 v[52:53], v[52:53], v[74:75]
	v_fma_f64 v[74:75], v[20:21], s[26:27], v[86:87]
	v_add_f64 v[66:67], v[90:91], v[68:69]
	v_fma_f64 v[68:69], v[84:85], s[24:25], -v[82:83]
	v_add_f64 v[58:59], v[58:59], v[76:77]
	v_add_f64 v[76:77], v[38:39], -v[56:57]
	v_add_f64 v[48:49], v[48:49], v[60:61]
	v_fma_f64 v[60:61], v[20:21], s[20:21], v[86:87]
	v_add_f64 v[38:39], v[38:39], v[56:57]
	v_fma_f64 v[88:89], v[84:85], s[38:39], -v[88:89]
	v_add_f64 v[56:57], v[68:69], v[70:71]
	v_add_f64 v[68:69], v[74:75], v[72:73]
	v_fma_f64 v[70:71], v[84:85], s[14:15], v[80:81]
	v_fma_f64 v[72:73], v[20:21], s[16:17], v[22:23]
	v_add_f64 v[74:75], v[36:37], v[54:55]
	v_add_f64 v[36:37], v[36:37], -v[54:55]
	v_mul_f64 v[54:55], v[76:77], s[20:21]
	v_add_f64 v[60:61], v[60:61], v[78:79]
	v_mul_f64 v[78:79], v[38:39], s[24:25]
	v_fma_f64 v[20:21], v[20:21], s[22:23], v[22:23]
	v_add_f64 v[22:23], v[70:71], v[30:31]
	v_add_f64 v[30:31], v[72:73], v[34:35]
	v_mul_f64 v[34:35], v[76:77], s[40:41]
	v_fma_f64 v[80:81], v[84:85], s[14:15], -v[80:81]
	v_fma_f64 v[72:73], v[74:75], s[24:25], v[54:55]
	v_mul_f64 v[70:71], v[38:39], s[38:39]
	v_fma_f64 v[82:83], v[36:37], s[26:27], v[78:79]
	v_add_f64 v[14:15], v[20:21], v[14:15]
	v_fma_f64 v[20:21], v[74:75], s[24:25], -v[54:55]
	v_fma_f64 v[54:55], v[36:37], s[20:21], v[78:79]
	v_fma_f64 v[78:79], v[74:75], s[38:39], v[34:35]
	v_add_f64 v[12:13], v[80:81], v[12:13]
	v_add_f64 v[26:27], v[72:73], v[26:27]
	v_mul_f64 v[72:73], v[76:77], s[18:19]
	v_fma_f64 v[80:81], v[36:37], s[36:37], v[70:71]
	v_add_f64 v[62:63], v[82:83], v[62:63]
	v_mul_f64 v[82:83], v[38:39], s[4:5]
	v_add_f64 v[20:21], v[20:21], v[24:25]
	v_add_f64 v[24:25], v[54:55], v[28:29]
	;; [unrolled: 1-line block ×3, first 2 shown]
	v_fma_f64 v[34:35], v[74:75], s[38:39], -v[34:35]
	v_fma_f64 v[54:55], v[74:75], s[4:5], v[72:73]
	v_mul_f64 v[78:79], v[76:77], s[16:17]
	v_add_f64 v[64:65], v[88:89], v[64:65]
	v_add_f64 v[32:33], v[80:81], v[40:41]
	v_fma_f64 v[40:41], v[36:37], s[40:41], v[70:71]
	v_fma_f64 v[70:71], v[36:37], s[2:3], v[82:83]
	v_fma_f64 v[72:73], v[74:75], s[4:5], -v[72:73]
	v_fma_f64 v[82:83], v[36:37], s[18:19], v[82:83]
	v_add_f64 v[34:35], v[34:35], v[42:43]
	v_add_f64 v[42:43], v[54:55], v[50:51]
	v_fma_f64 v[50:51], v[74:75], s[14:15], v[78:79]
	v_mul_f64 v[80:81], v[38:39], s[14:15]
	v_add_f64 v[40:41], v[40:41], v[48:49]
	v_add_f64 v[48:49], v[70:71], v[52:53]
	;; [unrolled: 1-line block ×4, first 2 shown]
	v_mul_f64 v[66:67], v[76:77], s[28:29]
	v_fma_f64 v[70:71], v[74:75], s[14:15], -v[78:79]
	v_add_f64 v[50:51], v[50:51], v[58:59]
	v_add_f64 v[58:59], v[46:47], -v[18:19]
	v_fma_f64 v[52:53], v[36:37], s[22:23], v[80:81]
	v_mul_f64 v[38:39], v[38:39], s[30:31]
	v_fma_f64 v[72:73], v[36:37], s[16:17], v[80:81]
	v_add_f64 v[18:19], v[46:47], v[18:19]
	v_fma_f64 v[46:47], v[74:75], s[30:31], v[66:67]
	v_add_f64 v[56:57], v[70:71], v[56:57]
	v_add_f64 v[70:71], v[44:45], v[16:17]
	v_add_f64 v[16:17], v[44:45], -v[16:17]
	v_mul_f64 v[44:45], v[58:59], s[28:29]
	v_add_f64 v[52:53], v[52:53], v[60:61]
	v_fma_f64 v[60:61], v[36:37], s[34:35], v[38:39]
	v_add_f64 v[68:69], v[72:73], v[68:69]
	v_mul_f64 v[72:73], v[18:19], s[30:31]
	v_add_f64 v[22:23], v[46:47], v[22:23]
	v_fma_f64 v[46:47], v[74:75], s[30:31], -v[66:67]
	v_fma_f64 v[36:37], v[36:37], s[28:29], v[38:39]
	v_fma_f64 v[66:67], v[70:71], s[30:31], v[44:45]
	v_fma_f64 v[44:45], v[70:71], s[30:31], -v[44:45]
	v_add_f64 v[30:31], v[60:61], v[30:31]
	v_mul_f64 v[38:39], v[58:59], s[26:27]
	v_mul_f64 v[60:61], v[18:19], s[24:25]
	v_fma_f64 v[74:75], v[16:17], s[34:35], v[72:73]
	v_fma_f64 v[72:73], v[16:17], s[28:29], v[72:73]
	v_add_f64 v[12:13], v[46:47], v[12:13]
	v_add_f64 v[14:15], v[36:37], v[14:15]
	;; [unrolled: 1-line block ×3, first 2 shown]
	v_mul_f64 v[44:45], v[58:59], s[16:17]
	v_fma_f64 v[36:37], v[70:71], s[24:25], v[38:39]
	v_fma_f64 v[46:47], v[16:17], s[20:21], v[60:61]
	v_add_f64 v[26:27], v[66:67], v[26:27]
	v_add_f64 v[24:25], v[72:73], v[24:25]
	v_mul_f64 v[66:67], v[18:19], s[14:15]
	v_fma_f64 v[38:39], v[70:71], s[24:25], -v[38:39]
	v_fma_f64 v[60:61], v[16:17], s[26:27], v[60:61]
	v_fma_f64 v[72:73], v[70:71], s[14:15], v[44:45]
	v_fma_f64 v[44:45], v[70:71], s[14:15], -v[44:45]
	v_add_f64 v[62:63], v[74:75], v[62:63]
	v_add_f64 v[28:29], v[36:37], v[28:29]
	v_add_f64 v[32:33], v[46:47], v[32:33]
	v_mul_f64 v[36:37], v[58:59], s[36:37]
	v_mul_f64 v[46:47], v[18:19], s[38:39]
	v_fma_f64 v[74:75], v[16:17], s[22:23], v[66:67]
	v_fma_f64 v[66:67], v[16:17], s[16:17], v[66:67]
	v_add_f64 v[34:35], v[38:39], v[34:35]
	v_add_f64 v[38:39], v[60:61], v[40:41]
	;; [unrolled: 1-line block ×3, first 2 shown]
	v_add_f64 v[54:55], v[6:7], -v[10:11]
	v_add_f64 v[60:61], v[6:7], v[10:11]
	v_mul_f64 v[6:7], v[58:59], s[18:19]
	v_mul_f64 v[10:11], v[18:19], s[4:5]
	v_fma_f64 v[76:77], v[70:71], s[38:39], v[36:37]
	v_fma_f64 v[78:79], v[16:17], s[40:41], v[46:47]
	v_add_f64 v[40:41], v[72:73], v[42:43]
	v_add_f64 v[42:43], v[74:75], v[48:49]
	;; [unrolled: 1-line block ×3, first 2 shown]
	v_fma_f64 v[18:19], v[70:71], s[38:39], -v[36:37]
	v_fma_f64 v[36:37], v[16:17], s[36:37], v[46:47]
	v_add_f64 v[46:47], v[4:5], v[8:9]
	v_add_f64 v[58:59], v[4:5], -v[8:9]
	v_mul_f64 v[8:9], v[54:55], s[36:37]
	v_fma_f64 v[4:5], v[70:71], s[4:5], v[6:7]
	v_fma_f64 v[66:67], v[16:17], s[2:3], v[10:11]
	v_mul_f64 v[64:65], v[60:61], s[38:39]
	v_fma_f64 v[6:7], v[70:71], s[4:5], -v[6:7]
	v_add_f64 v[68:69], v[36:37], v[68:69]
	v_fma_f64 v[10:11], v[16:17], s[18:19], v[10:11]
	v_add_f64 v[56:57], v[18:19], v[56:57]
	v_fma_f64 v[16:17], v[46:47], s[38:39], v[8:9]
	v_add_f64 v[36:37], v[4:5], v[22:23]
	v_add_f64 v[66:67], v[66:67], v[30:31]
	v_mul_f64 v[22:23], v[54:55], s[22:23]
	v_mul_f64 v[30:31], v[60:61], s[14:15]
	v_fma_f64 v[18:19], v[58:59], s[40:41], v[64:65]
	v_add_f64 v[70:71], v[6:7], v[12:13]
	v_add_f64 v[72:73], v[10:11], v[14:15]
	;; [unrolled: 1-line block ×3, first 2 shown]
	v_fma_f64 v[8:9], v[46:47], s[38:39], -v[8:9]
	v_fma_f64 v[10:11], v[58:59], s[36:37], v[64:65]
	v_fma_f64 v[12:13], v[46:47], s[14:15], v[22:23]
	;; [unrolled: 1-line block ×3, first 2 shown]
	v_mul_f64 v[26:27], v[54:55], s[28:29]
	v_fma_f64 v[16:17], v[46:47], s[14:15], -v[22:23]
	v_mul_f64 v[22:23], v[60:61], s[30:31]
	v_add_f64 v[6:7], v[18:19], v[62:63]
	v_fma_f64 v[18:19], v[58:59], s[22:23], v[30:31]
	v_add_f64 v[8:9], v[8:9], v[20:21]
	v_add_f64 v[10:11], v[10:11], v[24:25]
	;; [unrolled: 1-line block ×4, first 2 shown]
	v_fma_f64 v[20:21], v[46:47], s[30:31], v[26:27]
	v_fma_f64 v[24:25], v[58:59], s[34:35], v[22:23]
	v_fma_f64 v[26:27], v[46:47], s[30:31], -v[26:27]
	v_fma_f64 v[28:29], v[58:59], s[28:29], v[22:23]
	v_mul_f64 v[30:31], v[54:55], s[18:19]
	v_mul_f64 v[32:33], v[60:61], s[4:5]
	v_add_f64 v[16:17], v[16:17], v[34:35]
	v_add_f64 v[18:19], v[18:19], v[38:39]
	v_mul_f64 v[34:35], v[54:55], s[20:21]
	v_mul_f64 v[38:39], v[60:61], s[24:25]
	v_add_f64 v[50:51], v[76:77], v[50:51]
	v_add_f64 v[52:53], v[78:79], v[52:53]
	;; [unrolled: 1-line block ×6, first 2 shown]
	v_fma_f64 v[28:29], v[46:47], s[4:5], v[30:31]
	v_fma_f64 v[40:41], v[58:59], s[2:3], v[32:33]
	;; [unrolled: 1-line block ×4, first 2 shown]
	v_fma_f64 v[42:43], v[46:47], s[4:5], -v[30:31]
	v_fma_f64 v[34:35], v[46:47], s[24:25], -v[34:35]
	v_fma_f64 v[46:47], v[58:59], s[20:21], v[38:39]
	v_fma_f64 v[54:55], v[58:59], s[18:19], v[32:33]
	v_add_f64 v[28:29], v[28:29], v[50:51]
	v_add_f64 v[30:31], v[40:41], v[52:53]
	v_add_f64 v[36:37], v[44:45], v[36:37]
	v_add_f64 v[38:39], v[48:49], v[66:67]
	v_add_f64 v[32:33], v[42:43], v[56:57]
	v_add_f64 v[40:41], v[34:35], v[70:71]
	v_add_f64 v[42:43], v[46:47], v[72:73]
	v_add_f64 v[34:35], v[54:55], v[68:69]
	ds_write_b128 v255, v[0:3]
	ds_write_b128 v255, v[4:7] offset:2496
	ds_write_b128 v255, v[12:15] offset:4992
	ds_write_b128 v255, v[20:23] offset:7488
	ds_write_b128 v255, v[28:31] offset:9984
	ds_write_b128 v255, v[36:39] offset:12480
	ds_write_b128 v255, v[40:43] offset:14976
	ds_write_b128 v255, v[32:35] offset:17472
	ds_write_b128 v255, v[24:27] offset:19968
	ds_write_b128 v255, v[16:19] offset:22464
	ds_write_b128 v255, v[8:11] offset:24960
	s_waitcnt lgkmcnt(0)
	s_barrier
	s_and_b64 exec, exec, s[0:1]
	s_cbranch_execz .LBB0_31
; %bb.30:
	global_load_dwordx4 v[2:5], v255, s[12:13]
	global_load_dwordx4 v[6:9], v255, s[12:13] offset:2112
	v_mov_b32_e32 v1, s13
	v_add_co_u32_e32 v0, vcc, s12, v255
	v_addc_co_u32_e32 v1, vcc, 0, v1, vcc
	s_movk_i32 s0, 0x1000
	v_add_co_u32_e32 v18, vcc, s0, v0
	v_addc_co_u32_e32 v19, vcc, 0, v1, vcc
	global_load_dwordx4 v[10:13], v[18:19], off offset:128
	global_load_dwordx4 v[14:17], v[18:19], off offset:2240
	s_movk_i32 s0, 0x2000
	v_add_co_u32_e32 v50, vcc, s0, v0
	v_addc_co_u32_e32 v51, vcc, 0, v1, vcc
	global_load_dwordx4 v[18:21], v[50:51], off offset:256
	ds_read_b128 v[22:25], v255
	ds_read_b128 v[26:29], v255 offset:2112
	ds_read_b128 v[30:33], v255 offset:4224
	;; [unrolled: 1-line block ×5, first 2 shown]
	global_load_dwordx4 v[50:53], v[50:51], off offset:2368
	s_movk_i32 s5, 0x3000
	v_add_co_u32_e32 v62, vcc, s5, v0
	v_addc_co_u32_e32 v63, vcc, 0, v1, vcc
	ds_read_b128 v[46:49], v255 offset:25344
	global_load_dwordx4 v[54:57], v[62:63], off offset:384
	global_load_dwordx4 v[58:61], v[62:63], off offset:2496
	v_mad_u64_u32 v[70:71], s[0:1], s10, v207, 0
	v_mad_u64_u32 v[72:73], s[2:3], s8, v208, 0
	s_mul_i32 s3, s9, 0x840
	s_mul_hi_u32 s4, s8, 0x840
	v_mov_b32_e32 v62, v71
	v_mov_b32_e32 v63, v73
	s_add_i32 s3, s4, s3
	v_mad_u64_u32 v[76:77], s[4:5], s11, v207, v[62:63]
	v_mad_u64_u32 v[77:78], s[4:5], s9, v208, v[63:64]
	v_mov_b32_e32 v79, s7
	s_movk_i32 s7, 0x4000
	v_mov_b32_e32 v71, v76
	v_add_co_u32_e32 v74, vcc, s7, v0
	v_lshlrev_b64 v[70:71], 4, v[70:71]
	v_addc_co_u32_e32 v75, vcc, 0, v1, vcc
	v_mov_b32_e32 v73, v77
	v_lshlrev_b64 v[72:73], 4, v[72:73]
	v_add_co_u32_e32 v70, vcc, s6, v70
	v_addc_co_u32_e32 v71, vcc, v79, v71, vcc
	v_add_co_u32_e32 v70, vcc, v70, v72
	v_addc_co_u32_e32 v71, vcc, v71, v73, vcc
	global_load_dwordx4 v[62:65], v[74:75], off offset:512
	global_load_dwordx4 v[66:69], v[74:75], off offset:2624
	s_mov_b32 s0, 0x58e9ebb6
	s_mov_b32 s1, 0x3f431877
	s_mul_i32 s2, s8, 0x840
	v_mov_b32_e32 v80, s3
	v_add_co_u32_e32 v76, vcc, s2, v70
	s_movk_i32 s8, 0x5000
	v_addc_co_u32_e32 v77, vcc, v71, v80, vcc
	v_mov_b32_e32 v81, s3
	s_movk_i32 s4, 0x6000
	s_waitcnt vmcnt(9) lgkmcnt(6)
	v_mul_f64 v[72:73], v[24:25], v[4:5]
	v_mul_f64 v[4:5], v[22:23], v[4:5]
	s_waitcnt vmcnt(8) lgkmcnt(5)
	v_mul_f64 v[74:75], v[28:29], v[8:9]
	v_mul_f64 v[8:9], v[26:27], v[8:9]
	v_fma_f64 v[22:23], v[22:23], v[2:3], v[72:73]
	v_fma_f64 v[4:5], v[2:3], v[24:25], -v[4:5]
	v_fma_f64 v[24:25], v[26:27], v[6:7], v[74:75]
	v_fma_f64 v[8:9], v[6:7], v[28:29], -v[8:9]
	s_waitcnt vmcnt(6) lgkmcnt(3)
	v_mul_f64 v[26:27], v[36:37], v[16:17]
	v_mul_f64 v[16:17], v[34:35], v[16:17]
	;; [unrolled: 1-line block ×8, first 2 shown]
	v_fma_f64 v[24:25], v[34:35], v[14:15], v[26:27]
	v_fma_f64 v[14:15], v[14:15], v[36:37], -v[16:17]
	v_add_co_u32_e32 v16, vcc, s8, v0
	global_store_dwordx4 v[70:71], v[2:5], off
	global_store_dwordx4 v[76:77], v[6:9], off
	v_addc_co_u32_e32 v17, vcc, 0, v1, vcc
	global_load_dwordx4 v[2:5], v[16:17], off offset:640
	global_load_dwordx4 v[6:9], v[16:17], off offset:2752
	v_fma_f64 v[28:29], v[30:31], v[10:11], v[78:79]
	v_fma_f64 v[12:13], v[10:11], v[32:33], -v[12:13]
	s_waitcnt vmcnt(9) lgkmcnt(2)
	v_mul_f64 v[22:23], v[40:41], v[20:21]
	v_mul_f64 v[20:21], v[38:39], v[20:21]
	v_add_co_u32_e32 v16, vcc, s2, v76
	v_addc_co_u32_e32 v17, vcc, v77, v81, vcc
	v_mul_f64 v[10:11], v[28:29], s[0:1]
	v_mul_f64 v[12:13], v[12:13], s[0:1]
	v_mov_b32_e32 v32, s3
	global_store_dwordx4 v[16:17], v[10:13], off
	s_nop 0
	v_mul_f64 v[10:11], v[24:25], s[0:1]
	v_mul_f64 v[12:13], v[14:15], s[0:1]
	v_fma_f64 v[14:15], v[38:39], v[18:19], v[22:23]
	v_fma_f64 v[18:19], v[18:19], v[40:41], -v[20:21]
	s_waitcnt vmcnt(9) lgkmcnt(1)
	v_mul_f64 v[20:21], v[44:45], v[52:53]
	v_mul_f64 v[22:23], v[42:43], v[52:53]
	v_mov_b32_e32 v25, s3
	v_add_co_u32_e32 v24, vcc, s2, v16
	v_addc_co_u32_e32 v25, vcc, v17, v25, vcc
	global_store_dwordx4 v[24:25], v[10:13], off
	v_fma_f64 v[26:27], v[42:43], v[50:51], v[20:21]
	v_mul_f64 v[10:11], v[14:15], s[0:1]
	ds_read_b128 v[14:17], v255 offset:12672
	v_mul_f64 v[12:13], v[18:19], s[0:1]
	ds_read_b128 v[18:21], v255 offset:14784
	v_fma_f64 v[22:23], v[50:51], v[44:45], -v[22:23]
	v_add_co_u32_e32 v24, vcc, s2, v24
	s_waitcnt vmcnt(9) lgkmcnt(1)
	v_mul_f64 v[28:29], v[16:17], v[56:57]
	v_mul_f64 v[30:31], v[14:15], v[56:57]
	v_addc_co_u32_e32 v25, vcc, v25, v32, vcc
	global_store_dwordx4 v[24:25], v[10:13], off
	v_add_co_u32_e32 v24, vcc, s2, v24
	v_mul_f64 v[10:11], v[26:27], s[0:1]
	v_mul_f64 v[12:13], v[22:23], s[0:1]
	v_fma_f64 v[14:15], v[14:15], v[54:55], v[28:29]
	v_fma_f64 v[16:17], v[54:55], v[16:17], -v[30:31]
	s_waitcnt vmcnt(9) lgkmcnt(0)
	v_mul_f64 v[22:23], v[20:21], v[60:61]
	v_mul_f64 v[26:27], v[18:19], v[60:61]
	v_addc_co_u32_e32 v25, vcc, v25, v32, vcc
	global_store_dwordx4 v[24:25], v[10:13], off
	s_nop 0
	v_mul_f64 v[10:11], v[14:15], s[0:1]
	v_mul_f64 v[12:13], v[16:17], s[0:1]
	ds_read_b128 v[14:17], v255 offset:16896
	v_fma_f64 v[22:23], v[18:19], v[58:59], v[22:23]
	v_fma_f64 v[26:27], v[58:59], v[20:21], -v[26:27]
	ds_read_b128 v[18:21], v255 offset:19008
	v_add_co_u32_e32 v24, vcc, s2, v24
	s_waitcnt vmcnt(9) lgkmcnt(1)
	v_mul_f64 v[28:29], v[16:17], v[64:65]
	v_mul_f64 v[30:31], v[14:15], v[64:65]
	v_addc_co_u32_e32 v25, vcc, v25, v32, vcc
	global_store_dwordx4 v[24:25], v[10:13], off
	v_add_co_u32_e32 v24, vcc, s2, v24
	v_mul_f64 v[10:11], v[22:23], s[0:1]
	v_mul_f64 v[12:13], v[26:27], s[0:1]
	v_fma_f64 v[14:15], v[14:15], v[62:63], v[28:29]
	v_fma_f64 v[16:17], v[62:63], v[16:17], -v[30:31]
	s_waitcnt vmcnt(9) lgkmcnt(0)
	v_mul_f64 v[22:23], v[20:21], v[68:69]
	v_mul_f64 v[26:27], v[18:19], v[68:69]
	v_addc_co_u32_e32 v25, vcc, v25, v32, vcc
	v_mov_b32_e32 v28, s3
	global_store_dwordx4 v[24:25], v[10:13], off
	v_add_co_u32_e32 v24, vcc, s2, v24
	v_mul_f64 v[10:11], v[14:15], s[0:1]
	v_mul_f64 v[12:13], v[16:17], s[0:1]
	v_fma_f64 v[22:23], v[18:19], v[66:67], v[22:23]
	v_fma_f64 v[26:27], v[66:67], v[20:21], -v[26:27]
	ds_read_b128 v[14:17], v255 offset:21120
	ds_read_b128 v[18:21], v255 offset:23232
	v_addc_co_u32_e32 v25, vcc, v25, v28, vcc
	s_waitcnt vmcnt(7) lgkmcnt(1)
	v_mul_f64 v[28:29], v[16:17], v[4:5]
	v_mul_f64 v[4:5], v[14:15], v[4:5]
	s_waitcnt vmcnt(6) lgkmcnt(0)
	v_mul_f64 v[30:31], v[20:21], v[8:9]
	v_mul_f64 v[32:33], v[18:19], v[8:9]
	global_store_dwordx4 v[24:25], v[10:13], off
	v_mul_f64 v[8:9], v[22:23], s[0:1]
	v_mul_f64 v[10:11], v[26:27], s[0:1]
	v_mov_b32_e32 v22, s3
	v_fma_f64 v[12:13], v[14:15], v[2:3], v[28:29]
	v_fma_f64 v[4:5], v[2:3], v[16:17], -v[4:5]
	v_fma_f64 v[14:15], v[18:19], v[6:7], v[30:31]
	v_fma_f64 v[16:17], v[6:7], v[20:21], -v[32:33]
	v_add_co_u32_e32 v18, vcc, s2, v24
	v_addc_co_u32_e32 v19, vcc, v25, v22, vcc
	v_mul_f64 v[2:3], v[12:13], s[0:1]
	v_mul_f64 v[4:5], v[4:5], s[0:1]
	global_store_dwordx4 v[18:19], v[8:11], off
	v_mul_f64 v[6:7], v[14:15], s[0:1]
	v_mul_f64 v[8:9], v[16:17], s[0:1]
	v_mov_b32_e32 v11, s3
	v_add_co_u32_e32 v10, vcc, s2, v18
	v_addc_co_u32_e32 v11, vcc, v19, v11, vcc
	global_store_dwordx4 v[10:11], v[2:5], off
	s_nop 0
	v_mov_b32_e32 v2, s3
	v_add_co_u32_e32 v4, vcc, s2, v10
	v_addc_co_u32_e32 v5, vcc, v11, v2, vcc
	v_add_co_u32_e32 v0, vcc, s4, v0
	global_store_dwordx4 v[4:5], v[6:9], off
	v_addc_co_u32_e32 v1, vcc, 0, v1, vcc
	global_load_dwordx4 v[0:3], v[0:1], off offset:768
	v_add_co_u32_e32 v4, vcc, s2, v4
	s_waitcnt vmcnt(0)
	v_mul_f64 v[6:7], v[48:49], v[2:3]
	v_mul_f64 v[2:3], v[46:47], v[2:3]
	v_fma_f64 v[6:7], v[46:47], v[0:1], v[6:7]
	v_fma_f64 v[2:3], v[0:1], v[48:49], -v[2:3]
	v_mul_f64 v[0:1], v[6:7], s[0:1]
	v_mul_f64 v[2:3], v[2:3], s[0:1]
	v_mov_b32_e32 v6, s3
	v_addc_co_u32_e32 v5, vcc, v5, v6, vcc
	global_store_dwordx4 v[4:5], v[0:3], off
.LBB0_31:
	s_endpgm
	.section	.rodata,"a",@progbits
	.p2align	6, 0x0
	.amdhsa_kernel bluestein_single_back_len1716_dim1_dp_op_CI_CI
		.amdhsa_group_segment_fixed_size 27456
		.amdhsa_private_segment_fixed_size 452
		.amdhsa_kernarg_size 104
		.amdhsa_user_sgpr_count 6
		.amdhsa_user_sgpr_private_segment_buffer 1
		.amdhsa_user_sgpr_dispatch_ptr 0
		.amdhsa_user_sgpr_queue_ptr 0
		.amdhsa_user_sgpr_kernarg_segment_ptr 1
		.amdhsa_user_sgpr_dispatch_id 0
		.amdhsa_user_sgpr_flat_scratch_init 0
		.amdhsa_user_sgpr_private_segment_size 0
		.amdhsa_uses_dynamic_stack 0
		.amdhsa_system_sgpr_private_segment_wavefront_offset 1
		.amdhsa_system_sgpr_workgroup_id_x 1
		.amdhsa_system_sgpr_workgroup_id_y 0
		.amdhsa_system_sgpr_workgroup_id_z 0
		.amdhsa_system_sgpr_workgroup_info 0
		.amdhsa_system_vgpr_workitem_id 0
		.amdhsa_next_free_vgpr 256
		.amdhsa_next_free_sgpr 56
		.amdhsa_reserve_vcc 1
		.amdhsa_reserve_flat_scratch 0
		.amdhsa_float_round_mode_32 0
		.amdhsa_float_round_mode_16_64 0
		.amdhsa_float_denorm_mode_32 3
		.amdhsa_float_denorm_mode_16_64 3
		.amdhsa_dx10_clamp 1
		.amdhsa_ieee_mode 1
		.amdhsa_fp16_overflow 0
		.amdhsa_exception_fp_ieee_invalid_op 0
		.amdhsa_exception_fp_denorm_src 0
		.amdhsa_exception_fp_ieee_div_zero 0
		.amdhsa_exception_fp_ieee_overflow 0
		.amdhsa_exception_fp_ieee_underflow 0
		.amdhsa_exception_fp_ieee_inexact 0
		.amdhsa_exception_int_div_zero 0
	.end_amdhsa_kernel
	.text
.Lfunc_end0:
	.size	bluestein_single_back_len1716_dim1_dp_op_CI_CI, .Lfunc_end0-bluestein_single_back_len1716_dim1_dp_op_CI_CI
                                        ; -- End function
	.section	.AMDGPU.csdata,"",@progbits
; Kernel info:
; codeLenInByte = 25340
; NumSgprs: 60
; NumVgprs: 256
; ScratchSize: 452
; MemoryBound: 0
; FloatMode: 240
; IeeeMode: 1
; LDSByteSize: 27456 bytes/workgroup (compile time only)
; SGPRBlocks: 7
; VGPRBlocks: 63
; NumSGPRsForWavesPerEU: 60
; NumVGPRsForWavesPerEU: 256
; Occupancy: 1
; WaveLimiterHint : 1
; COMPUTE_PGM_RSRC2:SCRATCH_EN: 1
; COMPUTE_PGM_RSRC2:USER_SGPR: 6
; COMPUTE_PGM_RSRC2:TRAP_HANDLER: 0
; COMPUTE_PGM_RSRC2:TGID_X_EN: 1
; COMPUTE_PGM_RSRC2:TGID_Y_EN: 0
; COMPUTE_PGM_RSRC2:TGID_Z_EN: 0
; COMPUTE_PGM_RSRC2:TIDIG_COMP_CNT: 0
	.type	__hip_cuid_92325f49c92b4b2a,@object ; @__hip_cuid_92325f49c92b4b2a
	.section	.bss,"aw",@nobits
	.globl	__hip_cuid_92325f49c92b4b2a
__hip_cuid_92325f49c92b4b2a:
	.byte	0                               ; 0x0
	.size	__hip_cuid_92325f49c92b4b2a, 1

	.ident	"AMD clang version 19.0.0git (https://github.com/RadeonOpenCompute/llvm-project roc-6.4.0 25133 c7fe45cf4b819c5991fe208aaa96edf142730f1d)"
	.section	".note.GNU-stack","",@progbits
	.addrsig
	.addrsig_sym __hip_cuid_92325f49c92b4b2a
	.amdgpu_metadata
---
amdhsa.kernels:
  - .args:
      - .actual_access:  read_only
        .address_space:  global
        .offset:         0
        .size:           8
        .value_kind:     global_buffer
      - .actual_access:  read_only
        .address_space:  global
        .offset:         8
        .size:           8
        .value_kind:     global_buffer
      - .actual_access:  read_only
        .address_space:  global
        .offset:         16
        .size:           8
        .value_kind:     global_buffer
      - .actual_access:  read_only
        .address_space:  global
        .offset:         24
        .size:           8
        .value_kind:     global_buffer
      - .actual_access:  read_only
        .address_space:  global
        .offset:         32
        .size:           8
        .value_kind:     global_buffer
      - .offset:         40
        .size:           8
        .value_kind:     by_value
      - .address_space:  global
        .offset:         48
        .size:           8
        .value_kind:     global_buffer
      - .address_space:  global
        .offset:         56
        .size:           8
        .value_kind:     global_buffer
      - .address_space:  global
        .offset:         64
        .size:           8
        .value_kind:     global_buffer
      - .address_space:  global
        .offset:         72
        .size:           8
        .value_kind:     global_buffer
      - .offset:         80
        .size:           4
        .value_kind:     by_value
      - .address_space:  global
        .offset:         88
        .size:           8
        .value_kind:     global_buffer
      - .address_space:  global
        .offset:         96
        .size:           8
        .value_kind:     global_buffer
    .group_segment_fixed_size: 27456
    .kernarg_segment_align: 8
    .kernarg_segment_size: 104
    .language:       OpenCL C
    .language_version:
      - 2
      - 0
    .max_flat_workgroup_size: 156
    .name:           bluestein_single_back_len1716_dim1_dp_op_CI_CI
    .private_segment_fixed_size: 452
    .sgpr_count:     60
    .sgpr_spill_count: 0
    .symbol:         bluestein_single_back_len1716_dim1_dp_op_CI_CI.kd
    .uniform_work_group_size: 1
    .uses_dynamic_stack: false
    .vgpr_count:     256
    .vgpr_spill_count: 118
    .wavefront_size: 64
amdhsa.target:   amdgcn-amd-amdhsa--gfx906
amdhsa.version:
  - 1
  - 2
...

	.end_amdgpu_metadata
